;; amdgpu-corpus repo=amd/amd-lab-notes kind=compiled arch=gfx942 opt=O3
	.text
	.amdgcn_target "amdgcn-amd-amdhsa--gfx942"
	.amdhsa_code_object_version 6
	.protected	_Z27computeMaxNnzPerRowPerBlockiiPKiPjPiS2_ ; -- Begin function _Z27computeMaxNnzPerRowPerBlockiiPKiPjPiS2_
	.globl	_Z27computeMaxNnzPerRowPerBlockiiPKiPjPiS2_
	.p2align	8
	.type	_Z27computeMaxNnzPerRowPerBlockiiPKiPjPiS2_,@function
_Z27computeMaxNnzPerRowPerBlockiiPKiPjPiS2_: ; @_Z27computeMaxNnzPerRowPerBlockiiPKiPjPiS2_
; %bb.0:
	s_load_dword s3, s[0:1], 0x34
	s_load_dwordx2 s[4:5], s[0:1], 0x0
	v_lshrrev_b32_e32 v1, 6, v0
	s_waitcnt lgkmcnt(0)
	s_and_b32 s6, s3, 0xffff
	s_mul_i32 s6, s2, s6
	s_bfe_u32 s3, s3, 0xa0006
	v_add_u32_e32 v4, s6, v0
	s_mul_i32 s3, s3, s2
	v_add_u32_e32 v2, s3, v1
	v_cmp_gt_i32_e32 vcc, s4, v4
	v_mov_b32_e32 v1, 0
	s_and_saveexec_b64 s[2:3], vcc
	s_cbranch_execz .LBB0_2
; %bb.1:
	s_load_dwordx2 s[6:7], s[0:1], 0x8
	s_load_dwordx4 s[8:11], s[0:1], 0x18
	v_ashrrev_i32_e32 v5, 31, v4
	v_lshlrev_b64 v[6:7], 2, v[4:5]
	v_lshrrev_b32_e32 v1, 26, v5
	s_waitcnt lgkmcnt(0)
	v_lshl_add_u64 v[8:9], s[6:7], 0, v[6:7]
	global_load_dwordx2 v[8:9], v[8:9], off
	v_add_u32_e32 v1, v4, v1
	v_and_b32_e32 v1, 0xffffffc0, v1
	v_sub_u32_e32 v3, v4, v1
	v_lshl_add_u64 v[4:5], s[8:9], 0, v[6:7]
	v_lshl_add_u64 v[6:7], s[10:11], 0, v[6:7]
	global_store_dword v[4:5], v2, off
	global_store_dword v[6:7], v3, off
	s_waitcnt vmcnt(2)
	v_sub_u32_e32 v1, v9, v8
.LBB0_2:
	s_or_b64 exec, exec, s[2:3]
	v_mbcnt_lo_u32_b32 v3, -1, 0
	v_mbcnt_hi_u32_b32 v3, -1, v3
	v_and_b32_e32 v4, 63, v3
	v_cmp_gt_u32_e32 vcc, 32, v4
	v_and_b32_e32 v0, 63, v0
	v_cmp_eq_u32_e64 s[2:3], 0, v0
	v_cndmask_b32_e64 v5, 0, 1, vcc
	v_lshlrev_b32_e32 v5, 5, v5
	v_add_lshl_u32 v5, v5, v3, 2
	ds_bpermute_b32 v5, v5, v1
	v_cmp_gt_u32_e32 vcc, 48, v4
	s_waitcnt lgkmcnt(0)
	v_max_i32_e32 v1, v5, v1
	v_cndmask_b32_e64 v6, 0, 1, vcc
	v_lshlrev_b32_e32 v6, 4, v6
	v_add_lshl_u32 v5, v6, v3, 2
	ds_bpermute_b32 v5, v5, v1
	v_cmp_gt_u32_e32 vcc, 56, v4
	s_waitcnt lgkmcnt(0)
	v_max_i32_e32 v1, v5, v1
	;; [unrolled: 7-line block ×4, first 2 shown]
	v_cndmask_b32_e64 v6, 0, 1, vcc
	v_lshlrev_b32_e32 v6, 1, v6
	v_add_lshl_u32 v5, v6, v3, 2
	ds_bpermute_b32 v5, v5, v1
	v_cmp_ne_u32_e32 vcc, 63, v4
	s_waitcnt lgkmcnt(0)
	v_max_i32_e32 v1, v5, v1
	v_addc_co_u32_e32 v3, vcc, 0, v3, vcc
	v_lshlrev_b32_e32 v3, 2, v3
	ds_bpermute_b32 v3, v3, v1
	v_cmp_gt_i32_e32 vcc, s5, v2
	s_and_b64 s[2:3], s[2:3], vcc
	s_and_saveexec_b64 s[4:5], s[2:3]
	s_cbranch_execz .LBB0_4
; %bb.3:
	s_load_dwordx2 s[0:1], s[0:1], 0x10
	s_waitcnt lgkmcnt(0)
	v_max_i32_e32 v4, v3, v1
	v_ashrrev_i32_e32 v3, 31, v2
	v_lshl_add_u64 v[0:1], v[2:3], 2, s[0:1]
	global_store_dword v[0:1], v4, off
.LBB0_4:
	s_endpgm
	.section	.rodata,"a",@progbits
	.p2align	6, 0x0
	.amdhsa_kernel _Z27computeMaxNnzPerRowPerBlockiiPKiPjPiS2_
		.amdhsa_group_segment_fixed_size 0
		.amdhsa_private_segment_fixed_size 0
		.amdhsa_kernarg_size 296
		.amdhsa_user_sgpr_count 2
		.amdhsa_user_sgpr_dispatch_ptr 0
		.amdhsa_user_sgpr_queue_ptr 0
		.amdhsa_user_sgpr_kernarg_segment_ptr 1
		.amdhsa_user_sgpr_dispatch_id 0
		.amdhsa_user_sgpr_kernarg_preload_length 0
		.amdhsa_user_sgpr_kernarg_preload_offset 0
		.amdhsa_user_sgpr_private_segment_size 0
		.amdhsa_uses_dynamic_stack 0
		.amdhsa_enable_private_segment 0
		.amdhsa_system_sgpr_workgroup_id_x 1
		.amdhsa_system_sgpr_workgroup_id_y 0
		.amdhsa_system_sgpr_workgroup_id_z 0
		.amdhsa_system_sgpr_workgroup_info 0
		.amdhsa_system_vgpr_workitem_id 0
		.amdhsa_next_free_vgpr 10
		.amdhsa_next_free_sgpr 12
		.amdhsa_accum_offset 12
		.amdhsa_reserve_vcc 1
		.amdhsa_float_round_mode_32 0
		.amdhsa_float_round_mode_16_64 0
		.amdhsa_float_denorm_mode_32 3
		.amdhsa_float_denorm_mode_16_64 3
		.amdhsa_dx10_clamp 1
		.amdhsa_ieee_mode 1
		.amdhsa_fp16_overflow 0
		.amdhsa_tg_split 0
		.amdhsa_exception_fp_ieee_invalid_op 0
		.amdhsa_exception_fp_denorm_src 0
		.amdhsa_exception_fp_ieee_div_zero 0
		.amdhsa_exception_fp_ieee_overflow 0
		.amdhsa_exception_fp_ieee_underflow 0
		.amdhsa_exception_fp_ieee_inexact 0
		.amdhsa_exception_int_div_zero 0
	.end_amdhsa_kernel
	.text
.Lfunc_end0:
	.size	_Z27computeMaxNnzPerRowPerBlockiiPKiPjPiS2_, .Lfunc_end0-_Z27computeMaxNnzPerRowPerBlockiiPKiPjPiS2_
                                        ; -- End function
	.section	.AMDGPU.csdata,"",@progbits
; Kernel info:
; codeLenInByte = 492
; NumSgprs: 18
; NumVgprs: 10
; NumAgprs: 0
; TotalNumVgprs: 10
; ScratchSize: 0
; MemoryBound: 0
; FloatMode: 240
; IeeeMode: 1
; LDSByteSize: 0 bytes/workgroup (compile time only)
; SGPRBlocks: 2
; VGPRBlocks: 1
; NumSGPRsForWavesPerEU: 18
; NumVGPRsForWavesPerEU: 10
; AccumOffset: 12
; Occupancy: 8
; WaveLimiterHint : 0
; COMPUTE_PGM_RSRC2:SCRATCH_EN: 0
; COMPUTE_PGM_RSRC2:USER_SGPR: 2
; COMPUTE_PGM_RSRC2:TRAP_HANDLER: 0
; COMPUTE_PGM_RSRC2:TGID_X_EN: 1
; COMPUTE_PGM_RSRC2:TGID_Y_EN: 0
; COMPUTE_PGM_RSRC2:TGID_Z_EN: 0
; COMPUTE_PGM_RSRC2:TIDIG_COMP_CNT: 0
; COMPUTE_PGM_RSRC3_GFX90A:ACCUM_OFFSET: 2
; COMPUTE_PGM_RSRC3_GFX90A:TG_SPLIT: 0
	.section	.text._ZN7rocprim6detail31init_lookback_scan_state_kernelINS0_19lookback_scan_stateIjLb1ELb1EEEEEvT_jjPNS4_10value_typeE,"axG",@progbits,_ZN7rocprim6detail31init_lookback_scan_state_kernelINS0_19lookback_scan_stateIjLb1ELb1EEEEEvT_jjPNS4_10value_typeE,comdat
	.protected	_ZN7rocprim6detail31init_lookback_scan_state_kernelINS0_19lookback_scan_stateIjLb1ELb1EEEEEvT_jjPNS4_10value_typeE ; -- Begin function _ZN7rocprim6detail31init_lookback_scan_state_kernelINS0_19lookback_scan_stateIjLb1ELb1EEEEEvT_jjPNS4_10value_typeE
	.globl	_ZN7rocprim6detail31init_lookback_scan_state_kernelINS0_19lookback_scan_stateIjLb1ELb1EEEEEvT_jjPNS4_10value_typeE
	.p2align	8
	.type	_ZN7rocprim6detail31init_lookback_scan_state_kernelINS0_19lookback_scan_stateIjLb1ELb1EEEEEvT_jjPNS4_10value_typeE,@function
_ZN7rocprim6detail31init_lookback_scan_state_kernelINS0_19lookback_scan_stateIjLb1ELb1EEEEEvT_jjPNS4_10value_typeE: ; @_ZN7rocprim6detail31init_lookback_scan_state_kernelINS0_19lookback_scan_stateIjLb1ELb1EEEEEvT_jjPNS4_10value_typeE
; %bb.0:
	s_load_dword s3, s[0:1], 0x24
	s_load_dwordx2 s[8:9], s[0:1], 0x10
	s_load_dwordx4 s[4:7], s[0:1], 0x0
	s_waitcnt lgkmcnt(0)
	s_and_b32 s0, s3, 0xffff
	s_mul_i32 s2, s2, s0
	s_cmp_eq_u64 s[8:9], 0
	v_add_u32_e32 v0, s2, v0
	s_cbranch_scc1 .LBB1_9
; %bb.1:
	s_cmp_lt_u32 s7, s6
	s_cselect_b32 s0, s7, 0
	s_mov_b32 s3, 0
	v_cmp_eq_u32_e32 vcc, s0, v0
	s_and_saveexec_b64 s[0:1], vcc
	s_cbranch_execz .LBB1_8
; %bb.2:
	s_add_i32 s2, s7, 64
	s_lshl_b64 s[2:3], s[2:3], 3
	s_add_u32 s2, s4, s2
	s_addc_u32 s3, s5, s3
	v_mov_b32_e32 v2, 0
	global_load_dwordx2 v[4:5], v2, s[2:3] sc1
	s_waitcnt vmcnt(0)
	v_and_b32_e32 v3, 0xff, v5
	v_cmp_ne_u64_e32 vcc, 0, v[2:3]
	s_cbranch_vccnz .LBB1_7
; %bb.3:
	s_mov_b32 s7, 1
.LBB1_4:                                ; =>This Loop Header: Depth=1
                                        ;     Child Loop BB1_5 Depth 2
	s_max_u32 s10, s7, 1
.LBB1_5:                                ;   Parent Loop BB1_4 Depth=1
                                        ; =>  This Inner Loop Header: Depth=2
	s_add_i32 s10, s10, -1
	s_cmp_eq_u32 s10, 0
	s_sleep 1
	s_cbranch_scc0 .LBB1_5
; %bb.6:                                ;   in Loop: Header=BB1_4 Depth=1
	global_load_dwordx2 v[4:5], v2, s[2:3] sc1
	s_cmp_lt_u32 s7, 32
	s_cselect_b64 s[10:11], -1, 0
	s_cmp_lg_u64 s[10:11], 0
	s_addc_u32 s7, s7, 0
	s_waitcnt vmcnt(0)
	v_and_b32_e32 v3, 0xff, v5
	v_cmp_ne_u64_e32 vcc, 0, v[2:3]
	s_cbranch_vccz .LBB1_4
.LBB1_7:
	v_mov_b32_e32 v1, 0
	global_store_dword v1, v4, s[8:9]
.LBB1_8:
	s_or_b64 exec, exec, s[0:1]
.LBB1_9:
	v_cmp_gt_u32_e32 vcc, s6, v0
	s_and_saveexec_b64 s[0:1], vcc
	s_cbranch_execnz .LBB1_12
; %bb.10:
	s_or_b64 exec, exec, s[0:1]
	v_cmp_gt_u32_e32 vcc, 64, v0
	s_and_saveexec_b64 s[0:1], vcc
	s_cbranch_execnz .LBB1_13
.LBB1_11:
	s_endpgm
.LBB1_12:
	v_add_u32_e32 v2, 64, v0
	v_mov_b32_e32 v3, 0
	v_lshl_add_u64 v[4:5], v[2:3], 3, s[4:5]
	v_mov_b32_e32 v2, v3
	global_store_dwordx2 v[4:5], v[2:3], off
	s_or_b64 exec, exec, s[0:1]
	v_cmp_gt_u32_e32 vcc, 64, v0
	s_and_saveexec_b64 s[0:1], vcc
	s_cbranch_execz .LBB1_11
.LBB1_13:
	v_mov_b32_e32 v1, 0
	v_lshl_add_u64 v[2:3], v[0:1], 3, s[4:5]
	v_mov_b32_e32 v5, 0xff
	v_mov_b32_e32 v4, v1
	global_store_dwordx2 v[2:3], v[4:5], off
	s_endpgm
	.section	.rodata,"a",@progbits
	.p2align	6, 0x0
	.amdhsa_kernel _ZN7rocprim6detail31init_lookback_scan_state_kernelINS0_19lookback_scan_stateIjLb1ELb1EEEEEvT_jjPNS4_10value_typeE
		.amdhsa_group_segment_fixed_size 0
		.amdhsa_private_segment_fixed_size 0
		.amdhsa_kernarg_size 280
		.amdhsa_user_sgpr_count 2
		.amdhsa_user_sgpr_dispatch_ptr 0
		.amdhsa_user_sgpr_queue_ptr 0
		.amdhsa_user_sgpr_kernarg_segment_ptr 1
		.amdhsa_user_sgpr_dispatch_id 0
		.amdhsa_user_sgpr_kernarg_preload_length 0
		.amdhsa_user_sgpr_kernarg_preload_offset 0
		.amdhsa_user_sgpr_private_segment_size 0
		.amdhsa_uses_dynamic_stack 0
		.amdhsa_enable_private_segment 0
		.amdhsa_system_sgpr_workgroup_id_x 1
		.amdhsa_system_sgpr_workgroup_id_y 0
		.amdhsa_system_sgpr_workgroup_id_z 0
		.amdhsa_system_sgpr_workgroup_info 0
		.amdhsa_system_vgpr_workitem_id 0
		.amdhsa_next_free_vgpr 6
		.amdhsa_next_free_sgpr 12
		.amdhsa_accum_offset 8
		.amdhsa_reserve_vcc 1
		.amdhsa_float_round_mode_32 0
		.amdhsa_float_round_mode_16_64 0
		.amdhsa_float_denorm_mode_32 3
		.amdhsa_float_denorm_mode_16_64 3
		.amdhsa_dx10_clamp 1
		.amdhsa_ieee_mode 1
		.amdhsa_fp16_overflow 0
		.amdhsa_tg_split 0
		.amdhsa_exception_fp_ieee_invalid_op 0
		.amdhsa_exception_fp_denorm_src 0
		.amdhsa_exception_fp_ieee_div_zero 0
		.amdhsa_exception_fp_ieee_overflow 0
		.amdhsa_exception_fp_ieee_underflow 0
		.amdhsa_exception_fp_ieee_inexact 0
		.amdhsa_exception_int_div_zero 0
	.end_amdhsa_kernel
	.section	.text._ZN7rocprim6detail31init_lookback_scan_state_kernelINS0_19lookback_scan_stateIjLb1ELb1EEEEEvT_jjPNS4_10value_typeE,"axG",@progbits,_ZN7rocprim6detail31init_lookback_scan_state_kernelINS0_19lookback_scan_stateIjLb1ELb1EEEEEvT_jjPNS4_10value_typeE,comdat
.Lfunc_end1:
	.size	_ZN7rocprim6detail31init_lookback_scan_state_kernelINS0_19lookback_scan_stateIjLb1ELb1EEEEEvT_jjPNS4_10value_typeE, .Lfunc_end1-_ZN7rocprim6detail31init_lookback_scan_state_kernelINS0_19lookback_scan_stateIjLb1ELb1EEEEEvT_jjPNS4_10value_typeE
                                        ; -- End function
	.section	.AMDGPU.csdata,"",@progbits
; Kernel info:
; codeLenInByte = 320
; NumSgprs: 18
; NumVgprs: 6
; NumAgprs: 0
; TotalNumVgprs: 6
; ScratchSize: 0
; MemoryBound: 0
; FloatMode: 240
; IeeeMode: 1
; LDSByteSize: 0 bytes/workgroup (compile time only)
; SGPRBlocks: 2
; VGPRBlocks: 0
; NumSGPRsForWavesPerEU: 18
; NumVGPRsForWavesPerEU: 6
; AccumOffset: 8
; Occupancy: 8
; WaveLimiterHint : 0
; COMPUTE_PGM_RSRC2:SCRATCH_EN: 0
; COMPUTE_PGM_RSRC2:USER_SGPR: 2
; COMPUTE_PGM_RSRC2:TRAP_HANDLER: 0
; COMPUTE_PGM_RSRC2:TGID_X_EN: 1
; COMPUTE_PGM_RSRC2:TGID_Y_EN: 0
; COMPUTE_PGM_RSRC2:TGID_Z_EN: 0
; COMPUTE_PGM_RSRC2:TIDIG_COMP_CNT: 0
; COMPUTE_PGM_RSRC3_GFX90A:ACCUM_OFFSET: 1
; COMPUTE_PGM_RSRC3_GFX90A:TG_SPLIT: 0
	.section	.text._ZN7rocprim6detail31init_lookback_scan_state_kernelINS0_19lookback_scan_stateIjLb0ELb1EEEEEvT_jjPNS4_10value_typeE,"axG",@progbits,_ZN7rocprim6detail31init_lookback_scan_state_kernelINS0_19lookback_scan_stateIjLb0ELb1EEEEEvT_jjPNS4_10value_typeE,comdat
	.protected	_ZN7rocprim6detail31init_lookback_scan_state_kernelINS0_19lookback_scan_stateIjLb0ELb1EEEEEvT_jjPNS4_10value_typeE ; -- Begin function _ZN7rocprim6detail31init_lookback_scan_state_kernelINS0_19lookback_scan_stateIjLb0ELb1EEEEEvT_jjPNS4_10value_typeE
	.globl	_ZN7rocprim6detail31init_lookback_scan_state_kernelINS0_19lookback_scan_stateIjLb0ELb1EEEEEvT_jjPNS4_10value_typeE
	.p2align	8
	.type	_ZN7rocprim6detail31init_lookback_scan_state_kernelINS0_19lookback_scan_stateIjLb0ELb1EEEEEvT_jjPNS4_10value_typeE,@function
_ZN7rocprim6detail31init_lookback_scan_state_kernelINS0_19lookback_scan_stateIjLb0ELb1EEEEEvT_jjPNS4_10value_typeE: ; @_ZN7rocprim6detail31init_lookback_scan_state_kernelINS0_19lookback_scan_stateIjLb0ELb1EEEEEvT_jjPNS4_10value_typeE
; %bb.0:
	s_load_dword s3, s[0:1], 0x24
	s_load_dwordx2 s[8:9], s[0:1], 0x10
	s_load_dwordx4 s[4:7], s[0:1], 0x0
	s_waitcnt lgkmcnt(0)
	s_and_b32 s0, s3, 0xffff
	s_mul_i32 s2, s2, s0
	s_cmp_eq_u64 s[8:9], 0
	v_add_u32_e32 v0, s2, v0
	s_cbranch_scc1 .LBB2_6
; %bb.1:
	s_cmp_lt_u32 s7, s6
	s_cselect_b32 s0, s7, 0
	s_mov_b32 s3, 0
	v_cmp_eq_u32_e32 vcc, s0, v0
	s_and_saveexec_b64 s[0:1], vcc
	s_cbranch_execz .LBB2_5
; %bb.2:
	s_add_i32 s2, s7, 64
	s_lshl_b64 s[2:3], s[2:3], 3
	s_add_u32 s2, s4, s2
	s_addc_u32 s3, s5, s3
	v_mov_b32_e32 v4, 0
	global_load_dwordx2 v[2:3], v4, s[2:3] sc1
	s_waitcnt vmcnt(0)
	v_and_b32_e32 v5, 0xff, v3
	v_cmp_ne_u64_e32 vcc, 0, v[4:5]
	s_cbranch_vccnz .LBB2_4
.LBB2_3:                                ; =>This Inner Loop Header: Depth=1
	global_load_dwordx2 v[2:3], v4, s[2:3] sc1
	s_waitcnt vmcnt(0)
	v_and_b32_e32 v5, 0xff, v3
	v_cmp_eq_u64_e32 vcc, 0, v[4:5]
	s_cbranch_vccnz .LBB2_3
.LBB2_4:
	v_mov_b32_e32 v1, 0
	global_store_dword v1, v2, s[8:9]
.LBB2_5:
	s_or_b64 exec, exec, s[0:1]
.LBB2_6:
	v_cmp_gt_u32_e32 vcc, s6, v0
	s_and_saveexec_b64 s[0:1], vcc
	s_cbranch_execnz .LBB2_9
; %bb.7:
	s_or_b64 exec, exec, s[0:1]
	v_cmp_gt_u32_e32 vcc, 64, v0
	s_and_saveexec_b64 s[0:1], vcc
	s_cbranch_execnz .LBB2_10
.LBB2_8:
	s_endpgm
.LBB2_9:
	v_add_u32_e32 v2, 64, v0
	v_mov_b32_e32 v3, 0
	v_lshl_add_u64 v[4:5], v[2:3], 3, s[4:5]
	v_mov_b32_e32 v2, v3
	global_store_dwordx2 v[4:5], v[2:3], off
	s_or_b64 exec, exec, s[0:1]
	v_cmp_gt_u32_e32 vcc, 64, v0
	s_and_saveexec_b64 s[0:1], vcc
	s_cbranch_execz .LBB2_8
.LBB2_10:
	v_mov_b32_e32 v1, 0
	v_lshl_add_u64 v[2:3], v[0:1], 3, s[4:5]
	v_mov_b32_e32 v5, 0xff
	v_mov_b32_e32 v4, v1
	global_store_dwordx2 v[2:3], v[4:5], off
	s_endpgm
	.section	.rodata,"a",@progbits
	.p2align	6, 0x0
	.amdhsa_kernel _ZN7rocprim6detail31init_lookback_scan_state_kernelINS0_19lookback_scan_stateIjLb0ELb1EEEEEvT_jjPNS4_10value_typeE
		.amdhsa_group_segment_fixed_size 0
		.amdhsa_private_segment_fixed_size 0
		.amdhsa_kernarg_size 280
		.amdhsa_user_sgpr_count 2
		.amdhsa_user_sgpr_dispatch_ptr 0
		.amdhsa_user_sgpr_queue_ptr 0
		.amdhsa_user_sgpr_kernarg_segment_ptr 1
		.amdhsa_user_sgpr_dispatch_id 0
		.amdhsa_user_sgpr_kernarg_preload_length 0
		.amdhsa_user_sgpr_kernarg_preload_offset 0
		.amdhsa_user_sgpr_private_segment_size 0
		.amdhsa_uses_dynamic_stack 0
		.amdhsa_enable_private_segment 0
		.amdhsa_system_sgpr_workgroup_id_x 1
		.amdhsa_system_sgpr_workgroup_id_y 0
		.amdhsa_system_sgpr_workgroup_id_z 0
		.amdhsa_system_sgpr_workgroup_info 0
		.amdhsa_system_vgpr_workitem_id 0
		.amdhsa_next_free_vgpr 6
		.amdhsa_next_free_sgpr 10
		.amdhsa_accum_offset 8
		.amdhsa_reserve_vcc 1
		.amdhsa_float_round_mode_32 0
		.amdhsa_float_round_mode_16_64 0
		.amdhsa_float_denorm_mode_32 3
		.amdhsa_float_denorm_mode_16_64 3
		.amdhsa_dx10_clamp 1
		.amdhsa_ieee_mode 1
		.amdhsa_fp16_overflow 0
		.amdhsa_tg_split 0
		.amdhsa_exception_fp_ieee_invalid_op 0
		.amdhsa_exception_fp_denorm_src 0
		.amdhsa_exception_fp_ieee_div_zero 0
		.amdhsa_exception_fp_ieee_overflow 0
		.amdhsa_exception_fp_ieee_underflow 0
		.amdhsa_exception_fp_ieee_inexact 0
		.amdhsa_exception_int_div_zero 0
	.end_amdhsa_kernel
	.section	.text._ZN7rocprim6detail31init_lookback_scan_state_kernelINS0_19lookback_scan_stateIjLb0ELb1EEEEEvT_jjPNS4_10value_typeE,"axG",@progbits,_ZN7rocprim6detail31init_lookback_scan_state_kernelINS0_19lookback_scan_stateIjLb0ELb1EEEEEvT_jjPNS4_10value_typeE,comdat
.Lfunc_end2:
	.size	_ZN7rocprim6detail31init_lookback_scan_state_kernelINS0_19lookback_scan_stateIjLb0ELb1EEEEEvT_jjPNS4_10value_typeE, .Lfunc_end2-_ZN7rocprim6detail31init_lookback_scan_state_kernelINS0_19lookback_scan_stateIjLb0ELb1EEEEEvT_jjPNS4_10value_typeE
                                        ; -- End function
	.section	.AMDGPU.csdata,"",@progbits
; Kernel info:
; codeLenInByte = 280
; NumSgprs: 16
; NumVgprs: 6
; NumAgprs: 0
; TotalNumVgprs: 6
; ScratchSize: 0
; MemoryBound: 0
; FloatMode: 240
; IeeeMode: 1
; LDSByteSize: 0 bytes/workgroup (compile time only)
; SGPRBlocks: 1
; VGPRBlocks: 0
; NumSGPRsForWavesPerEU: 16
; NumVGPRsForWavesPerEU: 6
; AccumOffset: 8
; Occupancy: 8
; WaveLimiterHint : 0
; COMPUTE_PGM_RSRC2:SCRATCH_EN: 0
; COMPUTE_PGM_RSRC2:USER_SGPR: 2
; COMPUTE_PGM_RSRC2:TRAP_HANDLER: 0
; COMPUTE_PGM_RSRC2:TGID_X_EN: 1
; COMPUTE_PGM_RSRC2:TGID_Y_EN: 0
; COMPUTE_PGM_RSRC2:TGID_Z_EN: 0
; COMPUTE_PGM_RSRC2:TIDIG_COMP_CNT: 0
; COMPUTE_PGM_RSRC3_GFX90A:ACCUM_OFFSET: 1
; COMPUTE_PGM_RSRC3_GFX90A:TG_SPLIT: 0
	.section	.text._ZN7rocprim6detail20lookback_scan_kernelILNS0_25lookback_scan_determinismE0ELb1ENS0_19wrapped_scan_configINS_14default_configEjEEPjS6_N6thrust4plusIvEEjjNS0_19lookback_scan_stateIjLb1ELb1EEEEEvT2_T3_mT5_T4_T7_jPT6_SI_bb,"axG",@progbits,_ZN7rocprim6detail20lookback_scan_kernelILNS0_25lookback_scan_determinismE0ELb1ENS0_19wrapped_scan_configINS_14default_configEjEEPjS6_N6thrust4plusIvEEjjNS0_19lookback_scan_stateIjLb1ELb1EEEEEvT2_T3_mT5_T4_T7_jPT6_SI_bb,comdat
	.protected	_ZN7rocprim6detail20lookback_scan_kernelILNS0_25lookback_scan_determinismE0ELb1ENS0_19wrapped_scan_configINS_14default_configEjEEPjS6_N6thrust4plusIvEEjjNS0_19lookback_scan_stateIjLb1ELb1EEEEEvT2_T3_mT5_T4_T7_jPT6_SI_bb ; -- Begin function _ZN7rocprim6detail20lookback_scan_kernelILNS0_25lookback_scan_determinismE0ELb1ENS0_19wrapped_scan_configINS_14default_configEjEEPjS6_N6thrust4plusIvEEjjNS0_19lookback_scan_stateIjLb1ELb1EEEEEvT2_T3_mT5_T4_T7_jPT6_SI_bb
	.globl	_ZN7rocprim6detail20lookback_scan_kernelILNS0_25lookback_scan_determinismE0ELb1ENS0_19wrapped_scan_configINS_14default_configEjEEPjS6_N6thrust4plusIvEEjjNS0_19lookback_scan_stateIjLb1ELb1EEEEEvT2_T3_mT5_T4_T7_jPT6_SI_bb
	.p2align	8
	.type	_ZN7rocprim6detail20lookback_scan_kernelILNS0_25lookback_scan_determinismE0ELb1ENS0_19wrapped_scan_configINS_14default_configEjEEPjS6_N6thrust4plusIvEEjjNS0_19lookback_scan_stateIjLb1ELb1EEEEEvT2_T3_mT5_T4_T7_jPT6_SI_bb,@function
_ZN7rocprim6detail20lookback_scan_kernelILNS0_25lookback_scan_determinismE0ELb1ENS0_19wrapped_scan_configINS_14default_configEjEEPjS6_N6thrust4plusIvEEjjNS0_19lookback_scan_stateIjLb1ELb1EEEEEvT2_T3_mT5_T4_T7_jPT6_SI_bb: ; @_ZN7rocprim6detail20lookback_scan_kernelILNS0_25lookback_scan_determinismE0ELb1ENS0_19wrapped_scan_configINS_14default_configEjEEPjS6_N6thrust4plusIvEEjjNS0_19lookback_scan_stateIjLb1ELb1EEEEEvT2_T3_mT5_T4_T7_jPT6_SI_bb
; %bb.0:
	s_endpgm
	.section	.rodata,"a",@progbits
	.p2align	6, 0x0
	.amdhsa_kernel _ZN7rocprim6detail20lookback_scan_kernelILNS0_25lookback_scan_determinismE0ELb1ENS0_19wrapped_scan_configINS_14default_configEjEEPjS6_N6thrust4plusIvEEjjNS0_19lookback_scan_stateIjLb1ELb1EEEEEvT2_T3_mT5_T4_T7_jPT6_SI_bb
		.amdhsa_group_segment_fixed_size 0
		.amdhsa_private_segment_fixed_size 0
		.amdhsa_kernarg_size 68
		.amdhsa_user_sgpr_count 2
		.amdhsa_user_sgpr_dispatch_ptr 0
		.amdhsa_user_sgpr_queue_ptr 0
		.amdhsa_user_sgpr_kernarg_segment_ptr 1
		.amdhsa_user_sgpr_dispatch_id 0
		.amdhsa_user_sgpr_kernarg_preload_length 0
		.amdhsa_user_sgpr_kernarg_preload_offset 0
		.amdhsa_user_sgpr_private_segment_size 0
		.amdhsa_uses_dynamic_stack 0
		.amdhsa_enable_private_segment 0
		.amdhsa_system_sgpr_workgroup_id_x 1
		.amdhsa_system_sgpr_workgroup_id_y 0
		.amdhsa_system_sgpr_workgroup_id_z 0
		.amdhsa_system_sgpr_workgroup_info 0
		.amdhsa_system_vgpr_workitem_id 0
		.amdhsa_next_free_vgpr 1
		.amdhsa_next_free_sgpr 0
		.amdhsa_accum_offset 4
		.amdhsa_reserve_vcc 0
		.amdhsa_float_round_mode_32 0
		.amdhsa_float_round_mode_16_64 0
		.amdhsa_float_denorm_mode_32 3
		.amdhsa_float_denorm_mode_16_64 3
		.amdhsa_dx10_clamp 1
		.amdhsa_ieee_mode 1
		.amdhsa_fp16_overflow 0
		.amdhsa_tg_split 0
		.amdhsa_exception_fp_ieee_invalid_op 0
		.amdhsa_exception_fp_denorm_src 0
		.amdhsa_exception_fp_ieee_div_zero 0
		.amdhsa_exception_fp_ieee_overflow 0
		.amdhsa_exception_fp_ieee_underflow 0
		.amdhsa_exception_fp_ieee_inexact 0
		.amdhsa_exception_int_div_zero 0
	.end_amdhsa_kernel
	.section	.text._ZN7rocprim6detail20lookback_scan_kernelILNS0_25lookback_scan_determinismE0ELb1ENS0_19wrapped_scan_configINS_14default_configEjEEPjS6_N6thrust4plusIvEEjjNS0_19lookback_scan_stateIjLb1ELb1EEEEEvT2_T3_mT5_T4_T7_jPT6_SI_bb,"axG",@progbits,_ZN7rocprim6detail20lookback_scan_kernelILNS0_25lookback_scan_determinismE0ELb1ENS0_19wrapped_scan_configINS_14default_configEjEEPjS6_N6thrust4plusIvEEjjNS0_19lookback_scan_stateIjLb1ELb1EEEEEvT2_T3_mT5_T4_T7_jPT6_SI_bb,comdat
.Lfunc_end3:
	.size	_ZN7rocprim6detail20lookback_scan_kernelILNS0_25lookback_scan_determinismE0ELb1ENS0_19wrapped_scan_configINS_14default_configEjEEPjS6_N6thrust4plusIvEEjjNS0_19lookback_scan_stateIjLb1ELb1EEEEEvT2_T3_mT5_T4_T7_jPT6_SI_bb, .Lfunc_end3-_ZN7rocprim6detail20lookback_scan_kernelILNS0_25lookback_scan_determinismE0ELb1ENS0_19wrapped_scan_configINS_14default_configEjEEPjS6_N6thrust4plusIvEEjjNS0_19lookback_scan_stateIjLb1ELb1EEEEEvT2_T3_mT5_T4_T7_jPT6_SI_bb
                                        ; -- End function
	.section	.AMDGPU.csdata,"",@progbits
; Kernel info:
; codeLenInByte = 4
; NumSgprs: 6
; NumVgprs: 0
; NumAgprs: 0
; TotalNumVgprs: 0
; ScratchSize: 0
; MemoryBound: 0
; FloatMode: 240
; IeeeMode: 1
; LDSByteSize: 0 bytes/workgroup (compile time only)
; SGPRBlocks: 0
; VGPRBlocks: 0
; NumSGPRsForWavesPerEU: 6
; NumVGPRsForWavesPerEU: 1
; AccumOffset: 4
; Occupancy: 8
; WaveLimiterHint : 0
; COMPUTE_PGM_RSRC2:SCRATCH_EN: 0
; COMPUTE_PGM_RSRC2:USER_SGPR: 2
; COMPUTE_PGM_RSRC2:TRAP_HANDLER: 0
; COMPUTE_PGM_RSRC2:TGID_X_EN: 1
; COMPUTE_PGM_RSRC2:TGID_Y_EN: 0
; COMPUTE_PGM_RSRC2:TGID_Z_EN: 0
; COMPUTE_PGM_RSRC2:TIDIG_COMP_CNT: 0
; COMPUTE_PGM_RSRC3_GFX90A:ACCUM_OFFSET: 0
; COMPUTE_PGM_RSRC3_GFX90A:TG_SPLIT: 0
	.section	.text._ZN7rocprim6detail20lookback_scan_kernelILNS0_25lookback_scan_determinismE0ELb1ENS0_19wrapped_scan_configINS_14default_configEjEEPjS6_N6thrust4plusIvEEjjNS0_19lookback_scan_stateIjLb0ELb1EEEEEvT2_T3_mT5_T4_T7_jPT6_SI_bb,"axG",@progbits,_ZN7rocprim6detail20lookback_scan_kernelILNS0_25lookback_scan_determinismE0ELb1ENS0_19wrapped_scan_configINS_14default_configEjEEPjS6_N6thrust4plusIvEEjjNS0_19lookback_scan_stateIjLb0ELb1EEEEEvT2_T3_mT5_T4_T7_jPT6_SI_bb,comdat
	.protected	_ZN7rocprim6detail20lookback_scan_kernelILNS0_25lookback_scan_determinismE0ELb1ENS0_19wrapped_scan_configINS_14default_configEjEEPjS6_N6thrust4plusIvEEjjNS0_19lookback_scan_stateIjLb0ELb1EEEEEvT2_T3_mT5_T4_T7_jPT6_SI_bb ; -- Begin function _ZN7rocprim6detail20lookback_scan_kernelILNS0_25lookback_scan_determinismE0ELb1ENS0_19wrapped_scan_configINS_14default_configEjEEPjS6_N6thrust4plusIvEEjjNS0_19lookback_scan_stateIjLb0ELb1EEEEEvT2_T3_mT5_T4_T7_jPT6_SI_bb
	.globl	_ZN7rocprim6detail20lookback_scan_kernelILNS0_25lookback_scan_determinismE0ELb1ENS0_19wrapped_scan_configINS_14default_configEjEEPjS6_N6thrust4plusIvEEjjNS0_19lookback_scan_stateIjLb0ELb1EEEEEvT2_T3_mT5_T4_T7_jPT6_SI_bb
	.p2align	8
	.type	_ZN7rocprim6detail20lookback_scan_kernelILNS0_25lookback_scan_determinismE0ELb1ENS0_19wrapped_scan_configINS_14default_configEjEEPjS6_N6thrust4plusIvEEjjNS0_19lookback_scan_stateIjLb0ELb1EEEEEvT2_T3_mT5_T4_T7_jPT6_SI_bb,@function
_ZN7rocprim6detail20lookback_scan_kernelILNS0_25lookback_scan_determinismE0ELb1ENS0_19wrapped_scan_configINS_14default_configEjEEPjS6_N6thrust4plusIvEEjjNS0_19lookback_scan_stateIjLb0ELb1EEEEEvT2_T3_mT5_T4_T7_jPT6_SI_bb: ; @_ZN7rocprim6detail20lookback_scan_kernelILNS0_25lookback_scan_determinismE0ELb1ENS0_19wrapped_scan_configINS_14default_configEjEEPjS6_N6thrust4plusIvEEjjNS0_19lookback_scan_stateIjLb0ELb1EEEEEvT2_T3_mT5_T4_T7_jPT6_SI_bb
; %bb.0:
	s_load_dword s3, s[0:1], 0x28
	s_load_dwordx4 s[8:11], s[0:1], 0x0
	s_load_dwordx2 s[4:5], s[0:1], 0x10
	s_mul_i32 s6, s2, 0x1500
	s_mov_b32 s7, 0
	s_waitcnt lgkmcnt(0)
	s_add_i32 s3, s3, -1
	s_mul_i32 s12, s3, 0x1500
	s_sub_u32 s22, s4, s12
	s_subb_u32 s23, s5, 0
	s_cmp_lg_u32 s2, s3
	s_cselect_b64 s[12:13], -1, 0
	s_lshl_b64 s[14:15], s[6:7], 2
	s_add_u32 s6, s8, s14
	s_addc_u32 s7, s9, s15
	s_mov_b64 s[4:5], -1
	s_and_b64 vcc, exec, s[12:13]
	v_lshlrev_b32_e32 v2, 2, v0
	s_cbranch_vccz .LBB4_2
; %bb.1:
	v_mov_b32_e32 v3, 0
	v_lshl_add_u64 v[4:5], s[6:7], 0, v[2:3]
	v_add_co_u32_e32 v6, vcc, 0x1000, v4
	global_load_dword v1, v2, s[6:7]
	global_load_dword v3, v2, s[6:7] offset:1024
	global_load_dword v10, v2, s[6:7] offset:2048
	;; [unrolled: 1-line block ×3, first 2 shown]
	v_addc_co_u32_e32 v7, vcc, 0, v5, vcc
	v_add_co_u32_e32 v8, vcc, 0x2000, v4
	s_mov_b64 s[4:5], 0
	s_nop 0
	v_addc_co_u32_e32 v9, vcc, 0, v5, vcc
	global_load_dword v12, v[6:7], off
	global_load_dword v13, v[6:7], off offset:1024
	global_load_dword v14, v[6:7], off offset:2048
	;; [unrolled: 1-line block ×3, first 2 shown]
	global_load_dword v16, v[8:9], off
	global_load_dword v17, v[8:9], off offset:1024
	global_load_dword v18, v[8:9], off offset:2048
	;; [unrolled: 1-line block ×3, first 2 shown]
	v_add_co_u32_e32 v6, vcc, 0x3000, v4
	s_nop 1
	v_addc_co_u32_e32 v7, vcc, 0, v5, vcc
	v_add_co_u32_e32 v8, vcc, 0x4000, v4
	s_nop 1
	v_addc_co_u32_e32 v9, vcc, 0, v5, vcc
	global_load_dword v20, v[6:7], off
	global_load_dword v21, v[6:7], off offset:1024
	global_load_dword v22, v[6:7], off offset:2048
	;; [unrolled: 1-line block ×3, first 2 shown]
	global_load_dword v24, v[8:9], off
	global_load_dword v25, v[8:9], off offset:1024
	global_load_dword v26, v[8:9], off offset:2048
	;; [unrolled: 1-line block ×3, first 2 shown]
	v_add_co_u32_e32 v4, vcc, 0x5000, v4
	s_nop 1
	v_addc_co_u32_e32 v5, vcc, 0, v5, vcc
	global_load_dword v4, v[4:5], off
	s_waitcnt vmcnt(19)
	ds_write2st64_b32 v2, v1, v3 offset1:4
	s_waitcnt vmcnt(17)
	ds_write2st64_b32 v2, v10, v11 offset0:8 offset1:12
	s_waitcnt vmcnt(15)
	ds_write2st64_b32 v2, v12, v13 offset0:16 offset1:20
	;; [unrolled: 2-line block ×9, first 2 shown]
	s_waitcnt vmcnt(0)
	ds_write_b32 v2, v4 offset:20480
	s_waitcnt lgkmcnt(0)
	s_barrier
.LBB4_2:
	s_andn2_b64 vcc, exec, s[4:5]
	v_cmp_gt_u32_e64 s[4:5], s22, v0
	s_cbranch_vccnz .LBB4_46
; %bb.3:
	s_load_dword s3, s[6:7], 0x0
	v_mov_b32_e32 v3, 0
	v_lshl_add_u64 v[4:5], s[6:7], 0, v[2:3]
	s_waitcnt lgkmcnt(0)
	v_mov_b32_e32 v1, s3
	s_and_saveexec_b64 s[6:7], s[4:5]
	s_cbranch_execz .LBB4_5
; %bb.4:
	global_load_dword v1, v[4:5], off
.LBB4_5:
	s_or_b64 exec, exec, s[6:7]
	v_or_b32_e32 v3, 0x100, v0
	v_cmp_gt_u32_e32 vcc, s22, v3
	v_mov_b32_e32 v3, s3
	s_and_saveexec_b64 s[4:5], vcc
	s_cbranch_execz .LBB4_7
; %bb.6:
	global_load_dword v3, v[4:5], off offset:1024
.LBB4_7:
	s_or_b64 exec, exec, s[4:5]
	v_or_b32_e32 v6, 0x200, v0
	v_cmp_gt_u32_e32 vcc, s22, v6
	v_mov_b32_e32 v6, s3
	s_and_saveexec_b64 s[4:5], vcc
	s_cbranch_execz .LBB4_9
; %bb.8:
	global_load_dword v6, v[4:5], off offset:2048
.LBB4_9:
	;; [unrolled: 9-line block ×3, first 2 shown]
	s_or_b64 exec, exec, s[4:5]
	v_or_b32_e32 v8, 0x400, v0
	v_cmp_gt_u32_e32 vcc, s22, v8
	v_mov_b32_e32 v8, s3
	s_and_saveexec_b64 s[4:5], vcc
	s_cbranch_execz .LBB4_13
; %bb.12:
	v_add_co_u32_e32 v8, vcc, 0x1000, v4
	s_nop 1
	v_addc_co_u32_e32 v9, vcc, 0, v5, vcc
	global_load_dword v8, v[8:9], off
.LBB4_13:
	s_or_b64 exec, exec, s[4:5]
	v_or_b32_e32 v9, 0x500, v0
	v_cmp_gt_u32_e32 vcc, s22, v9
	v_mov_b32_e32 v9, s3
	s_and_saveexec_b64 s[4:5], vcc
	s_cbranch_execz .LBB4_15
; %bb.14:
	v_add_co_u32_e32 v10, vcc, 0x1000, v4
	s_nop 1
	v_addc_co_u32_e32 v11, vcc, 0, v5, vcc
	global_load_dword v9, v[10:11], off offset:1024
.LBB4_15:
	s_or_b64 exec, exec, s[4:5]
	v_or_b32_e32 v10, 0x600, v0
	v_cmp_gt_u32_e32 vcc, s22, v10
	v_mov_b32_e32 v10, s3
	s_and_saveexec_b64 s[4:5], vcc
	s_cbranch_execz .LBB4_17
; %bb.16:
	v_add_co_u32_e32 v10, vcc, 0x1000, v4
	s_nop 1
	v_addc_co_u32_e32 v11, vcc, 0, v5, vcc
	global_load_dword v10, v[10:11], off offset:2048
.LBB4_17:
	s_or_b64 exec, exec, s[4:5]
	v_or_b32_e32 v11, 0x700, v0
	v_cmp_gt_u32_e32 vcc, s22, v11
	v_mov_b32_e32 v11, s3
	s_and_saveexec_b64 s[4:5], vcc
	s_cbranch_execz .LBB4_19
; %bb.18:
	v_add_co_u32_e32 v12, vcc, 0x1000, v4
	s_nop 1
	v_addc_co_u32_e32 v13, vcc, 0, v5, vcc
	global_load_dword v11, v[12:13], off offset:3072
.LBB4_19:
	s_or_b64 exec, exec, s[4:5]
	v_or_b32_e32 v12, 0x800, v0
	v_cmp_gt_u32_e32 vcc, s22, v12
	v_mov_b32_e32 v12, s3
	s_and_saveexec_b64 s[4:5], vcc
	s_cbranch_execz .LBB4_21
; %bb.20:
	v_add_co_u32_e32 v12, vcc, 0x2000, v4
	s_nop 1
	v_addc_co_u32_e32 v13, vcc, 0, v5, vcc
	global_load_dword v12, v[12:13], off
.LBB4_21:
	s_or_b64 exec, exec, s[4:5]
	v_or_b32_e32 v13, 0x900, v0
	v_cmp_gt_u32_e32 vcc, s22, v13
	v_mov_b32_e32 v13, s3
	s_and_saveexec_b64 s[4:5], vcc
	s_cbranch_execz .LBB4_23
; %bb.22:
	v_add_co_u32_e32 v14, vcc, 0x2000, v4
	s_nop 1
	v_addc_co_u32_e32 v15, vcc, 0, v5, vcc
	global_load_dword v13, v[14:15], off offset:1024
.LBB4_23:
	s_or_b64 exec, exec, s[4:5]
	v_or_b32_e32 v14, 0xa00, v0
	v_cmp_gt_u32_e32 vcc, s22, v14
	v_mov_b32_e32 v14, s3
	s_and_saveexec_b64 s[4:5], vcc
	s_cbranch_execz .LBB4_25
; %bb.24:
	v_add_co_u32_e32 v14, vcc, 0x2000, v4
	s_nop 1
	v_addc_co_u32_e32 v15, vcc, 0, v5, vcc
	global_load_dword v14, v[14:15], off offset:2048
.LBB4_25:
	s_or_b64 exec, exec, s[4:5]
	v_or_b32_e32 v15, 0xb00, v0
	v_cmp_gt_u32_e32 vcc, s22, v15
	v_mov_b32_e32 v15, s3
	s_and_saveexec_b64 s[4:5], vcc
	s_cbranch_execz .LBB4_27
; %bb.26:
	v_add_co_u32_e32 v16, vcc, 0x2000, v4
	s_nop 1
	v_addc_co_u32_e32 v17, vcc, 0, v5, vcc
	global_load_dword v15, v[16:17], off offset:3072
.LBB4_27:
	s_or_b64 exec, exec, s[4:5]
	v_or_b32_e32 v16, 0xc00, v0
	v_cmp_gt_u32_e32 vcc, s22, v16
	v_mov_b32_e32 v16, s3
	s_and_saveexec_b64 s[4:5], vcc
	s_cbranch_execz .LBB4_29
; %bb.28:
	v_add_co_u32_e32 v16, vcc, 0x3000, v4
	s_nop 1
	v_addc_co_u32_e32 v17, vcc, 0, v5, vcc
	global_load_dword v16, v[16:17], off
.LBB4_29:
	s_or_b64 exec, exec, s[4:5]
	v_or_b32_e32 v17, 0xd00, v0
	v_cmp_gt_u32_e32 vcc, s22, v17
	v_mov_b32_e32 v17, s3
	s_and_saveexec_b64 s[4:5], vcc
	s_cbranch_execz .LBB4_31
; %bb.30:
	v_add_co_u32_e32 v18, vcc, 0x3000, v4
	s_nop 1
	v_addc_co_u32_e32 v19, vcc, 0, v5, vcc
	global_load_dword v17, v[18:19], off offset:1024
.LBB4_31:
	s_or_b64 exec, exec, s[4:5]
	v_or_b32_e32 v18, 0xe00, v0
	v_cmp_gt_u32_e32 vcc, s22, v18
	v_mov_b32_e32 v18, s3
	s_and_saveexec_b64 s[4:5], vcc
	s_cbranch_execz .LBB4_33
; %bb.32:
	v_add_co_u32_e32 v18, vcc, 0x3000, v4
	s_nop 1
	v_addc_co_u32_e32 v19, vcc, 0, v5, vcc
	global_load_dword v18, v[18:19], off offset:2048
.LBB4_33:
	s_or_b64 exec, exec, s[4:5]
	v_or_b32_e32 v19, 0xf00, v0
	v_cmp_gt_u32_e32 vcc, s22, v19
	v_mov_b32_e32 v19, s3
	s_and_saveexec_b64 s[4:5], vcc
	s_cbranch_execz .LBB4_35
; %bb.34:
	v_add_co_u32_e32 v20, vcc, 0x3000, v4
	s_nop 1
	v_addc_co_u32_e32 v21, vcc, 0, v5, vcc
	global_load_dword v19, v[20:21], off offset:3072
.LBB4_35:
	s_or_b64 exec, exec, s[4:5]
	v_or_b32_e32 v20, 0x1000, v0
	v_cmp_gt_u32_e32 vcc, s22, v20
	v_mov_b32_e32 v20, s3
	s_and_saveexec_b64 s[4:5], vcc
	s_cbranch_execz .LBB4_37
; %bb.36:
	v_add_co_u32_e32 v20, vcc, 0x4000, v4
	s_nop 1
	v_addc_co_u32_e32 v21, vcc, 0, v5, vcc
	global_load_dword v20, v[20:21], off
.LBB4_37:
	s_or_b64 exec, exec, s[4:5]
	v_or_b32_e32 v21, 0x1100, v0
	v_cmp_gt_u32_e32 vcc, s22, v21
	v_mov_b32_e32 v21, s3
	s_and_saveexec_b64 s[4:5], vcc
	s_cbranch_execz .LBB4_39
; %bb.38:
	v_add_co_u32_e32 v22, vcc, 0x4000, v4
	s_nop 1
	v_addc_co_u32_e32 v23, vcc, 0, v5, vcc
	global_load_dword v21, v[22:23], off offset:1024
.LBB4_39:
	s_or_b64 exec, exec, s[4:5]
	v_or_b32_e32 v22, 0x1200, v0
	v_cmp_gt_u32_e32 vcc, s22, v22
	v_mov_b32_e32 v22, s3
	s_and_saveexec_b64 s[4:5], vcc
	s_cbranch_execz .LBB4_41
; %bb.40:
	v_add_co_u32_e32 v22, vcc, 0x4000, v4
	s_nop 1
	v_addc_co_u32_e32 v23, vcc, 0, v5, vcc
	global_load_dword v22, v[22:23], off offset:2048
.LBB4_41:
	s_or_b64 exec, exec, s[4:5]
	v_or_b32_e32 v23, 0x1300, v0
	v_cmp_gt_u32_e32 vcc, s22, v23
	v_mov_b32_e32 v23, s3
	s_and_saveexec_b64 s[4:5], vcc
	s_cbranch_execz .LBB4_43
; %bb.42:
	v_add_co_u32_e32 v24, vcc, 0x4000, v4
	s_nop 1
	v_addc_co_u32_e32 v25, vcc, 0, v5, vcc
	global_load_dword v23, v[24:25], off offset:3072
.LBB4_43:
	s_or_b64 exec, exec, s[4:5]
	v_or_b32_e32 v24, 0x1400, v0
	v_cmp_gt_u32_e32 vcc, s22, v24
	v_mov_b32_e32 v24, s3
	s_and_saveexec_b64 s[4:5], vcc
	s_cbranch_execz .LBB4_45
; %bb.44:
	v_add_co_u32_e32 v4, vcc, 0x5000, v4
	s_nop 1
	v_addc_co_u32_e32 v5, vcc, 0, v5, vcc
	global_load_dword v24, v[4:5], off
.LBB4_45:
	s_or_b64 exec, exec, s[4:5]
	s_waitcnt vmcnt(0)
	ds_write2st64_b32 v2, v1, v3 offset1:4
	ds_write2st64_b32 v2, v6, v7 offset0:8 offset1:12
	ds_write2st64_b32 v2, v8, v9 offset0:16 offset1:20
	;; [unrolled: 1-line block ×9, first 2 shown]
	ds_write_b32 v2, v24 offset:20480
	s_waitcnt lgkmcnt(0)
	s_barrier
.LBB4_46:
	s_load_dwordx2 s[16:17], s[0:1], 0x20
	v_mul_u32_u24_e32 v34, 21, v0
	v_lshlrev_b32_e32 v1, 2, v34
	s_waitcnt lgkmcnt(0)
	ds_read2_b32 v[22:23], v1 offset1:1
	ds_read2_b32 v[20:21], v1 offset0:2 offset1:3
	ds_read2_b32 v[18:19], v1 offset0:4 offset1:5
	;; [unrolled: 1-line block ×9, first 2 shown]
	ds_read_b32 v35, v1 offset:80
	s_waitcnt lgkmcnt(9)
	v_add3_u32 v1, v23, v22, v20
	s_cmp_lg_u32 s2, 0
	s_waitcnt lgkmcnt(8)
	v_add3_u32 v37, v1, v21, v18
	v_mbcnt_lo_u32_b32 v36, -1, 0
	v_lshrrev_b32_e32 v1, 6, v0
	v_or_b32_e32 v3, 63, v0
	s_waitcnt lgkmcnt(0)
	s_barrier
	s_cbranch_scc0 .LBB4_73
; %bb.47:
	v_add3_u32 v24, v37, v19, v16
	v_add3_u32 v24, v24, v17, v14
	;; [unrolled: 1-line block ×7, first 2 shown]
	v_mbcnt_hi_u32_b32 v27, -1, v36
	v_add3_u32 v24, v24, v5, v35
	v_and_b32_e32 v25, 15, v27
	v_cmp_ne_u32_e32 vcc, 0, v25
	v_mov_b32_dpp v26, v24 row_shr:1 row_mask:0xf bank_mask:0xf
	s_nop 0
	v_cndmask_b32_e32 v26, 0, v26, vcc
	v_add_u32_e32 v24, v26, v24
	v_cmp_lt_u32_e32 vcc, 1, v25
	s_nop 0
	v_mov_b32_dpp v26, v24 row_shr:2 row_mask:0xf bank_mask:0xf
	v_cndmask_b32_e32 v26, 0, v26, vcc
	v_add_u32_e32 v24, v24, v26
	v_cmp_lt_u32_e32 vcc, 3, v25
	s_nop 0
	v_mov_b32_dpp v26, v24 row_shr:4 row_mask:0xf bank_mask:0xf
	;; [unrolled: 5-line block ×3, first 2 shown]
	v_cndmask_b32_e32 v25, 0, v26, vcc
	v_add_u32_e32 v24, v24, v25
	v_bfe_i32 v26, v27, 4, 1
	v_cmp_lt_u32_e32 vcc, 31, v27
	v_mov_b32_dpp v25, v24 row_bcast:15 row_mask:0xf bank_mask:0xf
	v_and_b32_e32 v25, v26, v25
	v_add_u32_e32 v24, v24, v25
	s_nop 1
	v_mov_b32_dpp v25, v24 row_bcast:31 row_mask:0xf bank_mask:0xf
	v_cndmask_b32_e32 v25, 0, v25, vcc
	v_add_u32_e32 v24, v24, v25
	v_cmp_eq_u32_e32 vcc, v3, v0
	s_and_saveexec_b64 s[4:5], vcc
	s_cbranch_execz .LBB4_49
; %bb.48:
	v_lshlrev_b32_e32 v25, 2, v1
	ds_write_b32 v25, v24
.LBB4_49:
	s_or_b64 exec, exec, s[4:5]
	v_cmp_gt_u32_e32 vcc, 4, v0
	s_waitcnt lgkmcnt(0)
	s_barrier
	s_and_saveexec_b64 s[4:5], vcc
	s_cbranch_execz .LBB4_51
; %bb.50:
	ds_read_b32 v25, v2
	v_and_b32_e32 v26, 3, v27
	v_cmp_ne_u32_e32 vcc, 0, v26
	s_waitcnt lgkmcnt(0)
	v_mov_b32_dpp v28, v25 row_shr:1 row_mask:0xf bank_mask:0xf
	v_cndmask_b32_e32 v28, 0, v28, vcc
	v_add_u32_e32 v25, v28, v25
	v_cmp_lt_u32_e32 vcc, 1, v26
	s_nop 0
	v_mov_b32_dpp v28, v25 row_shr:2 row_mask:0xf bank_mask:0xf
	v_cndmask_b32_e32 v26, 0, v28, vcc
	v_add_u32_e32 v25, v25, v26
	ds_write_b32 v2, v25
.LBB4_51:
	s_or_b64 exec, exec, s[4:5]
	v_cmp_gt_u32_e32 vcc, 64, v0
	v_cmp_lt_u32_e64 s[4:5], 63, v0
	s_waitcnt lgkmcnt(0)
	s_barrier
	s_waitcnt lgkmcnt(0)
                                        ; implicit-def: $vgpr38
	s_and_saveexec_b64 s[6:7], s[4:5]
	s_cbranch_execz .LBB4_53
; %bb.52:
	v_lshl_add_u32 v25, v1, 2, -4
	ds_read_b32 v38, v25
	s_waitcnt lgkmcnt(0)
	v_add_u32_e32 v24, v38, v24
.LBB4_53:
	s_or_b64 exec, exec, s[6:7]
	v_add_u32_e32 v25, -1, v27
	v_and_b32_e32 v26, 64, v27
	v_cmp_lt_i32_e64 s[4:5], v25, v26
	s_nop 1
	v_cndmask_b32_e64 v25, v25, v27, s[4:5]
	v_lshlrev_b32_e32 v25, 2, v25
	ds_bpermute_b32 v39, v25, v24
	v_cmp_eq_u32_e64 s[4:5], 0, v27
	s_and_saveexec_b64 s[6:7], vcc
	s_cbranch_execz .LBB4_72
; %bb.54:
	v_mov_b32_e32 v31, 0
	ds_read_b32 v24, v31 offset:12
	s_and_saveexec_b64 s[18:19], s[4:5]
	s_cbranch_execz .LBB4_56
; %bb.55:
	s_add_i32 s20, s2, 64
	s_mov_b32 s21, 0
	s_lshl_b64 s[20:21], s[20:21], 3
	s_add_u32 s20, s16, s20
	s_addc_u32 s21, s17, s21
	v_mov_b32_e32 v25, 1
	s_waitcnt lgkmcnt(0)
	global_store_dwordx2 v31, v[24:25], s[20:21] sc1
.LBB4_56:
	s_or_b64 exec, exec, s[18:19]
	v_xad_u32 v26, v27, -1, s2
	v_add_u32_e32 v30, 64, v26
	v_lshl_add_u64 v[32:33], v[30:31], 3, s[16:17]
	global_load_dwordx2 v[28:29], v[32:33], off sc1
	s_waitcnt vmcnt(0)
	v_cmp_eq_u16_sdwa s[20:21], v29, v31 src0_sel:BYTE_0 src1_sel:DWORD
	s_and_saveexec_b64 s[18:19], s[20:21]
	s_cbranch_execz .LBB4_60
; %bb.57:
	s_mov_b64 s[20:21], 0
	v_mov_b32_e32 v25, 0
.LBB4_58:                               ; =>This Inner Loop Header: Depth=1
	global_load_dwordx2 v[28:29], v[32:33], off sc1
	s_waitcnt vmcnt(0)
	v_cmp_ne_u16_sdwa s[24:25], v29, v25 src0_sel:BYTE_0 src1_sel:DWORD
	s_or_b64 s[20:21], s[24:25], s[20:21]
	s_andn2_b64 exec, exec, s[20:21]
	s_cbranch_execnz .LBB4_58
; %bb.59:
	s_or_b64 exec, exec, s[20:21]
.LBB4_60:
	s_or_b64 exec, exec, s[18:19]
	v_and_b32_e32 v48, 63, v27
	v_mov_b32_e32 v25, 2
	v_cmp_ne_u32_e32 vcc, 63, v48
	v_cmp_eq_u16_sdwa s[18:19], v29, v25 src0_sel:BYTE_0 src1_sel:DWORD
	v_lshlrev_b64 v[30:31], v27, -1
	v_addc_co_u32_e32 v40, vcc, 0, v27, vcc
	v_and_b32_e32 v32, s19, v31
	v_lshlrev_b32_e32 v40, 2, v40
	v_or_b32_e32 v32, 0x80000000, v32
	ds_bpermute_b32 v42, v40, v28
	v_and_b32_e32 v33, s18, v30
	v_ffbl_b32_e32 v32, v32
	v_add_u32_e32 v32, 32, v32
	v_ffbl_b32_e32 v33, v33
	v_min_u32_e32 v32, v33, v32
	v_add_u32_e32 v41, 1, v27
	v_cmp_le_u32_e32 vcc, v41, v32
	v_add_u32_e32 v43, 2, v27
	v_add_u32_e32 v45, 4, v27
	s_waitcnt lgkmcnt(0)
	v_cndmask_b32_e32 v33, 0, v42, vcc
	v_cmp_gt_u32_e32 vcc, 62, v48
	v_add_u32_e32 v28, v33, v28
	v_add_u32_e32 v47, 8, v27
	v_cndmask_b32_e64 v33, 0, 1, vcc
	v_lshlrev_b32_e32 v33, 1, v33
	v_add_lshl_u32 v42, v33, v27, 2
	ds_bpermute_b32 v33, v42, v28
	v_cmp_le_u32_e32 vcc, v43, v32
	v_add_u32_e32 v50, 16, v27
	v_add_u32_e32 v52, 32, v27
	s_waitcnt lgkmcnt(0)
	v_cndmask_b32_e32 v33, 0, v33, vcc
	v_cmp_gt_u32_e32 vcc, 60, v48
	v_add_u32_e32 v28, v28, v33
	s_nop 0
	v_cndmask_b32_e64 v33, 0, 1, vcc
	v_lshlrev_b32_e32 v33, 2, v33
	v_add_lshl_u32 v44, v33, v27, 2
	ds_bpermute_b32 v33, v44, v28
	v_cmp_le_u32_e32 vcc, v45, v32
	s_waitcnt lgkmcnt(0)
	s_nop 0
	v_cndmask_b32_e32 v33, 0, v33, vcc
	v_cmp_gt_u32_e32 vcc, 56, v48
	v_add_u32_e32 v28, v28, v33
	s_nop 0
	v_cndmask_b32_e64 v33, 0, 1, vcc
	v_lshlrev_b32_e32 v33, 3, v33
	v_add_lshl_u32 v46, v33, v27, 2
	ds_bpermute_b32 v33, v46, v28
	v_cmp_le_u32_e32 vcc, v47, v32
	s_waitcnt lgkmcnt(0)
	s_nop 0
	;; [unrolled: 11-line block ×4, first 2 shown]
	v_cndmask_b32_e32 v27, 0, v33, vcc
	v_add_u32_e32 v28, v28, v27
	v_mov_b32_e32 v27, 0
	s_branch .LBB4_62
.LBB4_61:                               ;   in Loop: Header=BB4_62 Depth=1
	s_or_b64 exec, exec, s[18:19]
	v_cmp_eq_u16_sdwa s[18:19], v29, v25 src0_sel:BYTE_0 src1_sel:DWORD
	ds_bpermute_b32 v53, v40, v28
	v_subrev_u32_e32 v26, 64, v26
	v_and_b32_e32 v32, s19, v31
	v_or_b32_e32 v32, 0x80000000, v32
	v_and_b32_e32 v33, s18, v30
	v_ffbl_b32_e32 v32, v32
	v_add_u32_e32 v32, 32, v32
	v_ffbl_b32_e32 v33, v33
	v_min_u32_e32 v32, v33, v32
	v_cmp_le_u32_e32 vcc, v41, v32
	s_waitcnt lgkmcnt(0)
	s_nop 0
	v_cndmask_b32_e32 v33, 0, v53, vcc
	v_add_u32_e32 v28, v33, v28
	ds_bpermute_b32 v33, v42, v28
	v_cmp_le_u32_e32 vcc, v43, v32
	s_waitcnt lgkmcnt(0)
	s_nop 0
	v_cndmask_b32_e32 v33, 0, v33, vcc
	v_add_u32_e32 v28, v28, v33
	ds_bpermute_b32 v33, v44, v28
	;; [unrolled: 6-line block ×5, first 2 shown]
	v_cmp_le_u32_e32 vcc, v52, v32
	s_waitcnt lgkmcnt(0)
	s_nop 0
	v_cndmask_b32_e32 v32, 0, v33, vcc
	v_add3_u32 v28, v32, v48, v28
.LBB4_62:                               ; =>This Loop Header: Depth=1
                                        ;     Child Loop BB4_65 Depth 2
	v_cmp_ne_u16_sdwa s[18:19], v29, v25 src0_sel:BYTE_0 src1_sel:DWORD
	v_mov_b32_e32 v48, v28
	s_nop 0
	v_cndmask_b32_e64 v29, 0, 1, s[18:19]
	;;#ASMSTART
	;;#ASMEND
	s_nop 0
	v_cmp_ne_u32_e32 vcc, 0, v29
	s_cmp_lg_u64 vcc, exec
	s_cbranch_scc1 .LBB4_67
; %bb.63:                               ;   in Loop: Header=BB4_62 Depth=1
	v_lshl_add_u64 v[32:33], v[26:27], 3, s[16:17]
	global_load_dwordx2 v[28:29], v[32:33], off sc1
	s_waitcnt vmcnt(0)
	v_cmp_eq_u16_sdwa s[20:21], v29, v27 src0_sel:BYTE_0 src1_sel:DWORD
	s_and_saveexec_b64 s[18:19], s[20:21]
	s_cbranch_execz .LBB4_61
; %bb.64:                               ;   in Loop: Header=BB4_62 Depth=1
	s_mov_b64 s[20:21], 0
.LBB4_65:                               ;   Parent Loop BB4_62 Depth=1
                                        ; =>  This Inner Loop Header: Depth=2
	global_load_dwordx2 v[28:29], v[32:33], off sc1
	s_waitcnt vmcnt(0)
	v_cmp_ne_u16_sdwa s[24:25], v29, v27 src0_sel:BYTE_0 src1_sel:DWORD
	s_or_b64 s[20:21], s[24:25], s[20:21]
	s_andn2_b64 exec, exec, s[20:21]
	s_cbranch_execnz .LBB4_65
; %bb.66:                               ;   in Loop: Header=BB4_62 Depth=1
	s_or_b64 exec, exec, s[20:21]
	s_branch .LBB4_61
.LBB4_67:                               ;   in Loop: Header=BB4_62 Depth=1
                                        ; implicit-def: $vgpr28
                                        ; implicit-def: $vgpr29
	s_cbranch_execz .LBB4_62
; %bb.68:
	s_and_saveexec_b64 s[18:19], s[4:5]
	s_cbranch_execz .LBB4_70
; %bb.69:
	s_add_i32 s2, s2, 64
	s_mov_b32 s3, 0
	s_lshl_b64 s[2:3], s[2:3], 3
	s_add_u32 s2, s16, s2
	s_addc_u32 s3, s17, s3
	v_mov_b32_e32 v26, 0
	v_add_u32_e32 v24, v48, v24
	v_mov_b32_e32 v25, 2
	global_store_dwordx2 v26, v[24:25], s[2:3] sc1
.LBB4_70:
	s_or_b64 exec, exec, s[18:19]
	v_cmp_eq_u32_e32 vcc, 0, v0
	s_and_b64 exec, exec, vcc
	s_cbranch_execz .LBB4_72
; %bb.71:
	v_mov_b32_e32 v24, 0
	ds_write_b32 v24, v48 offset:12
.LBB4_72:
	s_or_b64 exec, exec, s[6:7]
	v_mov_b32_e32 v24, 0
	s_waitcnt lgkmcnt(0)
	s_barrier
	ds_read_b32 v24, v24 offset:12
	v_cndmask_b32_e64 v25, v39, v38, s[4:5]
	v_cmp_ne_u32_e32 vcc, 0, v0
	s_nop 1
	v_cndmask_b32_e32 v25, 0, v25, vcc
	s_waitcnt lgkmcnt(0)
	v_add_u32_e32 v24, v24, v25
	s_load_dwordx4 s[4:7], s[0:1], 0x30
	s_branch .LBB4_86
.LBB4_73:
                                        ; implicit-def: $vgpr24
	s_load_dwordx4 s[4:7], s[0:1], 0x30
	s_cbranch_execz .LBB4_86
; %bb.74:
	s_load_dword s2, s[0:1], 0x40
	s_waitcnt lgkmcnt(0)
	s_bitcmp0_b32 s2, 0
	s_cbranch_scc1 .LBB4_76
; %bb.75:
	s_add_u32 s2, s8, -4
	s_addc_u32 s3, s9, -1
	s_load_dword s8, s[2:3], 0x0
	s_load_dword s9, s[4:5], 0x0
	s_waitcnt lgkmcnt(0)
	s_add_i32 s4, s9, s8
	s_branch .LBB4_77
.LBB4_76:
	s_load_dword s4, s[0:1], 0x18
.LBB4_77:
	v_add3_u32 v24, v37, v19, v16
	v_add3_u32 v24, v24, v17, v14
	;; [unrolled: 1-line block ×8, first 2 shown]
	v_mbcnt_hi_u32_b32 v24, -1, v36
	v_and_b32_e32 v26, 15, v24
	v_mov_b32_dpp v27, v25 row_shr:1 row_mask:0xf bank_mask:0xf
	v_cmp_ne_u32_e32 vcc, 0, v26
	s_nop 1
	v_cndmask_b32_e32 v27, 0, v27, vcc
	v_add_u32_e32 v25, v27, v25
	v_cmp_lt_u32_e32 vcc, 1, v26
	s_nop 0
	v_mov_b32_dpp v27, v25 row_shr:2 row_mask:0xf bank_mask:0xf
	v_cndmask_b32_e32 v27, 0, v27, vcc
	v_add_u32_e32 v25, v25, v27
	v_cmp_lt_u32_e32 vcc, 3, v26
	s_nop 0
	v_mov_b32_dpp v27, v25 row_shr:4 row_mask:0xf bank_mask:0xf
	;; [unrolled: 5-line block ×3, first 2 shown]
	v_cndmask_b32_e32 v26, 0, v27, vcc
	v_add_u32_e32 v25, v25, v26
	v_bfe_i32 v27, v24, 4, 1
	v_cmp_lt_u32_e32 vcc, 31, v24
	v_mov_b32_dpp v26, v25 row_bcast:15 row_mask:0xf bank_mask:0xf
	v_and_b32_e32 v26, v27, v26
	v_add_u32_e32 v25, v25, v26
	s_nop 1
	v_mov_b32_dpp v26, v25 row_bcast:31 row_mask:0xf bank_mask:0xf
	v_cndmask_b32_e32 v26, 0, v26, vcc
	v_add_u32_e32 v25, v25, v26
	v_cmp_eq_u32_e32 vcc, v3, v0
	s_and_saveexec_b64 s[2:3], vcc
	s_cbranch_execz .LBB4_79
; %bb.78:
	v_lshlrev_b32_e32 v3, 2, v1
	ds_write_b32 v3, v25
.LBB4_79:
	s_or_b64 exec, exec, s[2:3]
	v_cmp_gt_u32_e32 vcc, 4, v0
	s_waitcnt lgkmcnt(0)
	s_barrier
	s_and_saveexec_b64 s[2:3], vcc
	s_cbranch_execz .LBB4_81
; %bb.80:
	ds_read_b32 v3, v2
	v_and_b32_e32 v26, 3, v24
	v_cmp_ne_u32_e32 vcc, 0, v26
	s_waitcnt lgkmcnt(0)
	v_mov_b32_dpp v27, v3 row_shr:1 row_mask:0xf bank_mask:0xf
	v_cndmask_b32_e32 v27, 0, v27, vcc
	v_add_u32_e32 v3, v27, v3
	v_cmp_lt_u32_e32 vcc, 1, v26
	s_nop 0
	v_mov_b32_dpp v27, v3 row_shr:2 row_mask:0xf bank_mask:0xf
	v_cndmask_b32_e32 v26, 0, v27, vcc
	v_add_u32_e32 v3, v3, v26
	ds_write_b32 v2, v3
.LBB4_81:
	s_or_b64 exec, exec, s[2:3]
	v_cmp_lt_u32_e32 vcc, 63, v0
	v_mov_b32_e32 v3, s4
	s_waitcnt lgkmcnt(0)
	s_barrier
	s_and_saveexec_b64 s[2:3], vcc
	s_cbranch_execz .LBB4_83
; %bb.82:
	v_lshl_add_u32 v1, v1, 2, -4
	ds_read_b32 v1, v1
	s_waitcnt lgkmcnt(0)
	v_add_u32_e32 v3, s4, v1
.LBB4_83:
	s_or_b64 exec, exec, s[2:3]
	v_add_u32_e32 v1, v3, v25
	v_add_u32_e32 v25, -1, v24
	v_and_b32_e32 v26, 64, v24
	v_cmp_lt_i32_e32 vcc, v25, v26
	s_nop 1
	v_cndmask_b32_e32 v25, v25, v24, vcc
	v_lshlrev_b32_e32 v25, 2, v25
	ds_bpermute_b32 v1, v25, v1
	v_cmp_eq_u32_e32 vcc, 0, v24
	s_waitcnt lgkmcnt(0)
	s_nop 0
	v_cndmask_b32_e32 v24, v1, v3, vcc
	v_cmp_eq_u32_e32 vcc, 0, v0
	s_and_saveexec_b64 s[2:3], vcc
	s_cbranch_execz .LBB4_85
; %bb.84:
	v_mov_b32_e32 v1, 0
	ds_read_b32 v3, v1 offset:12
	v_mov_b32_e32 v25, 2
	s_waitcnt lgkmcnt(0)
	v_add_u32_e32 v24, s4, v3
	global_store_dwordx2 v1, v[24:25], s[16:17] offset:512 sc1
	v_mov_b32_e32 v24, s4
.LBB4_85:
	s_or_b64 exec, exec, s[2:3]
.LBB4_86:
	v_add_u32_e32 v1, v24, v22
	v_add_u32_e32 v22, v1, v23
	;; [unrolled: 1-line block ×19, first 2 shown]
	s_add_u32 s2, s10, s14
	v_add_u32_e32 v5, v4, v5
	s_addc_u32 s3, s11, s15
	s_waitcnt lgkmcnt(0)
	s_mov_b64 s[4:5], -1
	s_and_b64 vcc, exec, s[12:13]
	s_barrier
	s_cbranch_vccz .LBB4_88
; %bb.87:
	v_mul_u32_u24_e32 v3, 0x54, v0
	s_movk_i32 s4, 0x54
	ds_write2_b32 v3, v24, v1 offset1:1
	ds_write2_b32 v3, v22, v20 offset0:2 offset1:3
	ds_write2_b32 v3, v21, v18 offset0:4 offset1:5
	;; [unrolled: 1-line block ×9, first 2 shown]
	ds_write_b32 v3, v5 offset:80
	v_mul_i32_i24_e32 v3, 0xffffffb0, v0
	v_mad_u32_u24 v3, v0, s4, v3
	s_waitcnt lgkmcnt(0)
	s_barrier
	ds_read2st64_b32 v[26:27], v3 offset1:4
	ds_read2st64_b32 v[28:29], v3 offset0:8 offset1:12
	ds_read2st64_b32 v[30:31], v3 offset0:16 offset1:20
	;; [unrolled: 1-line block ×9, first 2 shown]
	ds_read_b32 v23, v3 offset:20480
	v_mov_b32_e32 v3, 0
	v_lshl_add_u64 v[48:49], s[2:3], 0, v[2:3]
	s_movk_i32 s4, 0x1000
	s_waitcnt lgkmcnt(10)
	global_store_dword v2, v26, s[2:3]
	global_store_dword v2, v27, s[2:3] offset:1024
	s_waitcnt lgkmcnt(9)
	global_store_dword v2, v28, s[2:3] offset:2048
	global_store_dword v2, v29, s[2:3] offset:3072
	v_add_co_u32_e32 v26, vcc, s4, v48
	s_movk_i32 s4, 0x2000
	s_nop 0
	v_addc_co_u32_e32 v27, vcc, 0, v49, vcc
	v_add_co_u32_e32 v28, vcc, s4, v48
	s_movk_i32 s4, 0x3000
	s_nop 0
	v_addc_co_u32_e32 v29, vcc, 0, v49, vcc
	s_waitcnt lgkmcnt(8)
	global_store_dword v[28:29], v30, off offset:-4096
	global_store_dword v[26:27], v31, off offset:1024
	s_waitcnt lgkmcnt(7)
	global_store_dword v[26:27], v32, off offset:2048
	global_store_dword v[26:27], v33, off offset:3072
	s_waitcnt lgkmcnt(6)
	global_store_dword v[28:29], v36, off
	global_store_dword v[28:29], v37, off offset:1024
	s_waitcnt lgkmcnt(5)
	global_store_dword v[28:29], v38, off offset:2048
	global_store_dword v[28:29], v39, off offset:3072
	v_add_co_u32_e32 v26, vcc, s4, v48
	s_mov_b64 s[4:5], 0
	s_nop 0
	v_addc_co_u32_e32 v27, vcc, 0, v49, vcc
	s_waitcnt lgkmcnt(4)
	global_store_dword v[26:27], v40, off
	global_store_dword v[26:27], v41, off offset:1024
	s_waitcnt lgkmcnt(3)
	global_store_dword v[26:27], v42, off offset:2048
	global_store_dword v[26:27], v43, off offset:3072
	v_add_co_u32_e32 v26, vcc, 0x4000, v48
	s_nop 1
	v_addc_co_u32_e32 v27, vcc, 0, v49, vcc
	s_waitcnt lgkmcnt(2)
	global_store_dword v[26:27], v44, off
	global_store_dword v[26:27], v45, off offset:1024
	s_waitcnt lgkmcnt(1)
	global_store_dword v[26:27], v46, off offset:2048
	global_store_dword v[26:27], v47, off offset:3072
	v_add_co_u32_e32 v26, vcc, 0x5000, v48
	s_nop 1
	v_addc_co_u32_e32 v27, vcc, 0, v49, vcc
	s_waitcnt lgkmcnt(0)
	global_store_dword v[26:27], v23, off
.LBB4_88:
	s_andn2_b64 vcc, exec, s[4:5]
	s_cbranch_vccnz .LBB4_209
; %bb.89:
	v_mul_u32_u24_e32 v3, 0x54, v0
	s_movk_i32 s4, 0x54
	ds_write2_b32 v3, v24, v1 offset1:1
	ds_write2_b32 v3, v22, v20 offset0:2 offset1:3
	ds_write2_b32 v3, v21, v18 offset0:4 offset1:5
	;; [unrolled: 1-line block ×9, first 2 shown]
	ds_write_b32 v3, v5 offset:80
	v_mul_i32_i24_e32 v1, 0xffffffb0, v0
	v_mad_u32_u24 v1, v0, s4, v1
	s_waitcnt lgkmcnt(0)
	s_barrier
	ds_read2st64_b32 v[6:7], v1 offset1:4
	ds_read2st64_b32 v[8:9], v1 offset0:8 offset1:12
	ds_read2st64_b32 v[10:11], v1 offset0:16 offset1:20
	;; [unrolled: 1-line block ×9, first 2 shown]
	ds_read_b32 v26, v1 offset:20480
	v_mov_b32_e32 v3, 0
	v_lshl_add_u64 v[24:25], s[2:3], 0, v[2:3]
	v_cmp_gt_u32_e32 vcc, s22, v0
	s_and_saveexec_b64 s[2:3], vcc
	s_cbranch_execz .LBB4_91
; %bb.90:
	s_waitcnt lgkmcnt(10)
	global_store_dword v[24:25], v6, off
.LBB4_91:
	s_or_b64 exec, exec, s[2:3]
	v_or_b32_e32 v1, 0x100, v0
	v_cmp_gt_u32_e32 vcc, s22, v1
	s_and_saveexec_b64 s[2:3], vcc
	s_cbranch_execz .LBB4_93
; %bb.92:
	s_waitcnt lgkmcnt(10)
	global_store_dword v[24:25], v7, off offset:1024
.LBB4_93:
	s_or_b64 exec, exec, s[2:3]
	v_or_b32_e32 v1, 0x200, v0
	v_cmp_gt_u32_e32 vcc, s22, v1
	s_and_saveexec_b64 s[2:3], vcc
	s_cbranch_execz .LBB4_95
; %bb.94:
	s_waitcnt lgkmcnt(9)
	global_store_dword v[24:25], v8, off offset:2048
.LBB4_95:
	;; [unrolled: 9-line block ×3, first 2 shown]
	s_or_b64 exec, exec, s[2:3]
	v_or_b32_e32 v1, 0x400, v0
	v_cmp_gt_u32_e32 vcc, s22, v1
	s_and_saveexec_b64 s[2:3], vcc
	s_cbranch_execz .LBB4_99
; %bb.98:
	v_add_co_u32_e32 v28, vcc, 0x1000, v24
	s_nop 1
	v_addc_co_u32_e32 v29, vcc, 0, v25, vcc
	s_waitcnt lgkmcnt(8)
	global_store_dword v[28:29], v10, off
.LBB4_99:
	s_or_b64 exec, exec, s[2:3]
	v_or_b32_e32 v1, 0x500, v0
	v_cmp_gt_u32_e32 vcc, s22, v1
	s_and_saveexec_b64 s[2:3], vcc
	s_cbranch_execz .LBB4_101
; %bb.100:
	v_add_co_u32_e32 v28, vcc, 0x1000, v24
	s_nop 1
	v_addc_co_u32_e32 v29, vcc, 0, v25, vcc
	s_waitcnt lgkmcnt(8)
	global_store_dword v[28:29], v11, off offset:1024
.LBB4_101:
	s_or_b64 exec, exec, s[2:3]
	v_or_b32_e32 v1, 0x600, v0
	v_cmp_gt_u32_e32 vcc, s22, v1
	s_and_saveexec_b64 s[2:3], vcc
	s_cbranch_execz .LBB4_103
; %bb.102:
	v_add_co_u32_e32 v28, vcc, 0x1000, v24
	s_nop 1
	v_addc_co_u32_e32 v29, vcc, 0, v25, vcc
	s_waitcnt lgkmcnt(7)
	global_store_dword v[28:29], v16, off offset:2048
.LBB4_103:
	s_or_b64 exec, exec, s[2:3]
	v_or_b32_e32 v1, 0x700, v0
	v_cmp_gt_u32_e32 vcc, s22, v1
	s_and_saveexec_b64 s[2:3], vcc
	s_cbranch_execz .LBB4_105
; %bb.104:
	v_add_co_u32_e32 v28, vcc, 0x1000, v24
	s_nop 1
	v_addc_co_u32_e32 v29, vcc, 0, v25, vcc
	s_waitcnt lgkmcnt(7)
	global_store_dword v[28:29], v17, off offset:3072
.LBB4_105:
	s_or_b64 exec, exec, s[2:3]
	v_or_b32_e32 v1, 0x800, v0
	v_cmp_gt_u32_e32 vcc, s22, v1
	s_and_saveexec_b64 s[2:3], vcc
	s_cbranch_execz .LBB4_107
; %bb.106:
	v_add_co_u32_e32 v28, vcc, 0x2000, v24
	s_nop 1
	v_addc_co_u32_e32 v29, vcc, 0, v25, vcc
	s_waitcnt lgkmcnt(6)
	global_store_dword v[28:29], v12, off
.LBB4_107:
	s_or_b64 exec, exec, s[2:3]
	v_or_b32_e32 v1, 0x900, v0
	v_cmp_gt_u32_e32 vcc, s22, v1
	s_and_saveexec_b64 s[2:3], vcc
	s_cbranch_execz .LBB4_109
; %bb.108:
	v_add_co_u32_e32 v28, vcc, 0x2000, v24
	s_nop 1
	v_addc_co_u32_e32 v29, vcc, 0, v25, vcc
	s_waitcnt lgkmcnt(6)
	global_store_dword v[28:29], v13, off offset:1024
.LBB4_109:
	s_or_b64 exec, exec, s[2:3]
	v_or_b32_e32 v1, 0xa00, v0
	v_cmp_gt_u32_e32 vcc, s22, v1
	s_and_saveexec_b64 s[2:3], vcc
	s_cbranch_execz .LBB4_111
; %bb.110:
	v_add_co_u32_e32 v28, vcc, 0x2000, v24
	s_nop 1
	v_addc_co_u32_e32 v29, vcc, 0, v25, vcc
	s_waitcnt lgkmcnt(5)
	global_store_dword v[28:29], v4, off offset:2048
.LBB4_111:
	s_or_b64 exec, exec, s[2:3]
	v_or_b32_e32 v1, 0xb00, v0
	v_cmp_gt_u32_e32 vcc, s22, v1
	s_and_saveexec_b64 s[2:3], vcc
	s_cbranch_execz .LBB4_113
; %bb.112:
	v_add_co_u32_e32 v28, vcc, 0x2000, v24
	s_nop 1
	v_addc_co_u32_e32 v29, vcc, 0, v25, vcc
	s_waitcnt lgkmcnt(5)
	global_store_dword v[28:29], v5, off offset:3072
.LBB4_113:
	;; [unrolled: 48-line block ×4, first 2 shown]
	s_or_b64 exec, exec, s[2:3]
	v_or_b32_e32 v1, 0x1400, v0
	v_cmp_gt_u32_e32 vcc, s22, v1
	s_and_saveexec_b64 s[2:3], vcc
	s_cbranch_execz .LBB4_131
; %bb.130:
	v_add_co_u32_e32 v24, vcc, 0x5000, v24
	s_nop 1
	v_addc_co_u32_e32 v25, vcc, 0, v25, vcc
	s_waitcnt lgkmcnt(0)
	global_store_dword v[24:25], v26, off
.LBB4_131:
	s_or_b64 exec, exec, s[2:3]
	s_load_dword s0, s[0:1], 0x40
	s_waitcnt lgkmcnt(0)
	s_bfe_u32 s0, s0, 0x10008
	s_cmp_eq_u32 s0, 0
	s_cbranch_scc1 .LBB4_209
; %bb.132:
	s_add_u32 s0, s22, -1
	s_addc_u32 s1, s23, -1
	s_add_u32 s2, 0, 0x30c26c00
	s_addc_u32 s3, 0, 44
	s_add_i32 s3, s3, 0xc30c2e0
	s_mul_hi_u32 s9, s2, 0xffffffeb
	s_sub_i32 s9, s9, s2
	s_mul_i32 s10, s3, 0xffffffeb
	s_mul_i32 s4, s2, 0xffffffeb
	s_add_i32 s9, s9, s10
	s_mul_hi_u32 s5, s3, s4
	s_mul_i32 s8, s3, s4
	s_mul_i32 s11, s2, s9
	s_mul_hi_u32 s4, s2, s4
	s_mul_hi_u32 s10, s2, s9
	s_add_u32 s4, s4, s11
	s_addc_u32 s10, 0, s10
	s_add_u32 s4, s4, s8
	s_mul_hi_u32 s11, s3, s9
	s_addc_u32 s4, s10, s5
	s_addc_u32 s5, s11, 0
	s_mul_i32 s8, s3, s9
	s_add_u32 s4, s4, s8
	v_mov_b32_e32 v2, s4
	s_addc_u32 s5, 0, s5
	v_add_co_u32_e32 v2, vcc, s2, v2
	s_cmp_lg_u64 vcc, 0
	s_addc_u32 s2, s3, s5
	v_readfirstlane_b32 s5, v2
	s_mul_i32 s4, s0, s2
	s_mul_hi_u32 s8, s0, s5
	s_mul_hi_u32 s3, s0, s2
	s_add_u32 s4, s8, s4
	s_addc_u32 s3, 0, s3
	s_mul_hi_u32 s9, s1, s5
	s_mul_i32 s5, s1, s5
	s_add_u32 s4, s4, s5
	s_mul_hi_u32 s8, s1, s2
	s_addc_u32 s3, s3, s9
	s_addc_u32 s4, s8, 0
	s_mul_i32 s2, s1, s2
	s_add_u32 s2, s3, s2
	s_addc_u32 s3, 0, s4
	s_add_u32 s4, s2, 1
	s_addc_u32 s5, s3, 0
	s_add_u32 s8, s2, 2
	s_mul_i32 s10, s3, 21
	s_mul_hi_u32 s11, s2, 21
	s_addc_u32 s9, s3, 0
	s_add_i32 s11, s11, s10
	s_mul_i32 s10, s2, 21
	v_mov_b32_e32 v2, s10
	v_sub_co_u32_e32 v2, vcc, s0, v2
	s_cmp_lg_u64 vcc, 0
	v_mov_b32_e32 v1, v3
	s_subb_u32 s10, s1, s11
	v_subrev_co_u32_e32 v3, vcc, 21, v2
	s_cmp_lg_u64 vcc, 0
	s_subb_u32 s11, s10, 0
	v_readfirstlane_b32 s12, v3
	s_cmp_gt_u32 s12, 20
	s_cselect_b32 s12, -1, 0
	s_cmp_eq_u32 s11, 0
	s_cselect_b32 s11, s12, -1
	s_cmp_lg_u32 s11, 0
	s_cselect_b32 s4, s8, s4
	v_readfirstlane_b32 s8, v2
	s_cselect_b32 s5, s9, s5
	s_cmp_gt_u32 s8, 20
	s_cselect_b32 s8, -1, 0
	s_cmp_eq_u32 s10, 0
	s_cselect_b32 s8, s8, -1
	s_cmp_lg_u32 s8, 0
	s_cselect_b32 s3, s5, s3
	s_cselect_b32 s2, s4, s2
	v_cmp_eq_u64_e32 vcc, s[2:3], v[0:1]
	s_and_saveexec_b64 s[2:3], vcc
	s_cbranch_execz .LBB4_209
; %bb.133:
	v_mul_hi_u32_u24_e32 v1, 21, v0
	v_mov_b32_e32 v2, s1
	v_sub_co_u32_e32 v0, vcc, s0, v34
	s_nop 1
	v_subb_co_u32_e32 v1, vcc, v2, v1, vcc
	v_cmp_lt_i64_e32 vcc, 10, v[0:1]
	s_and_saveexec_b64 s[0:1], vcc
	s_xor_b64 s[0:1], exec, s[0:1]
	s_cbranch_execz .LBB4_171
; %bb.134:
	v_cmp_lt_i64_e32 vcc, 15, v[0:1]
	s_and_saveexec_b64 s[2:3], vcc
	s_xor_b64 s[2:3], exec, s[2:3]
	s_cbranch_execz .LBB4_152
; %bb.135:
	;; [unrolled: 5-line block ×5, first 2 shown]
	v_mov_b32_e32 v0, 0
	global_store_dword v0, v26, s[6:7]
                                        ; implicit-def: $vgpr20_vgpr21
.LBB4_139:
	s_andn2_saveexec_b64 s[10:11], s[10:11]
	s_cbranch_execz .LBB4_141
; %bb.140:
	v_mov_b32_e32 v0, 0
	global_store_dword v0, v21, s[6:7]
.LBB4_141:
	s_or_b64 exec, exec, s[10:11]
                                        ; implicit-def: $vgpr20_vgpr21
.LBB4_142:
	s_andn2_saveexec_b64 s[8:9], s[8:9]
	s_cbranch_execz .LBB4_144
; %bb.143:
	v_mov_b32_e32 v0, 0
	global_store_dword v0, v20, s[6:7]
.LBB4_144:
	s_or_b64 exec, exec, s[8:9]
                                        ; implicit-def: $vgpr22_vgpr23
                                        ; implicit-def: $vgpr0_vgpr1
.LBB4_145:
	s_andn2_saveexec_b64 s[4:5], s[4:5]
	s_cbranch_execz .LBB4_151
; %bb.146:
	v_cmp_lt_i64_e32 vcc, 16, v[0:1]
	s_and_saveexec_b64 s[8:9], vcc
	s_xor_b64 s[8:9], exec, s[8:9]
	s_cbranch_execz .LBB4_148
; %bb.147:
	v_mov_b32_e32 v0, 0
	global_store_dword v0, v23, s[6:7]
                                        ; implicit-def: $vgpr22_vgpr23
.LBB4_148:
	s_andn2_saveexec_b64 s[8:9], s[8:9]
	s_cbranch_execz .LBB4_150
; %bb.149:
	v_mov_b32_e32 v0, 0
	global_store_dword v0, v22, s[6:7]
.LBB4_150:
	s_or_b64 exec, exec, s[8:9]
.LBB4_151:
	s_or_b64 exec, exec, s[4:5]
                                        ; implicit-def: $vgpr0_vgpr1
                                        ; implicit-def: $vgpr4_vgpr5
                                        ; implicit-def: $vgpr14_vgpr15
                                        ; implicit-def: $vgpr18_vgpr19
.LBB4_152:
	s_andn2_saveexec_b64 s[2:3], s[2:3]
	s_cbranch_execz .LBB4_170
; %bb.153:
	v_cmp_lt_i64_e32 vcc, 12, v[0:1]
	s_and_saveexec_b64 s[4:5], vcc
	s_xor_b64 s[4:5], exec, s[4:5]
	s_cbranch_execz .LBB4_163
; %bb.154:
	v_cmp_lt_i64_e32 vcc, 13, v[0:1]
	s_and_saveexec_b64 s[8:9], vcc
	s_xor_b64 s[8:9], exec, s[8:9]
	;; [unrolled: 5-line block ×3, first 2 shown]
	s_cbranch_execz .LBB4_157
; %bb.156:
	v_mov_b32_e32 v0, 0
	global_store_dword v0, v19, s[6:7]
                                        ; implicit-def: $vgpr18_vgpr19
.LBB4_157:
	s_andn2_saveexec_b64 s[10:11], s[10:11]
	s_cbranch_execz .LBB4_159
; %bb.158:
	v_mov_b32_e32 v0, 0
	global_store_dword v0, v18, s[6:7]
.LBB4_159:
	s_or_b64 exec, exec, s[10:11]
                                        ; implicit-def: $vgpr14_vgpr15
.LBB4_160:
	s_andn2_saveexec_b64 s[8:9], s[8:9]
	s_cbranch_execz .LBB4_162
; %bb.161:
	v_mov_b32_e32 v0, 0
	global_store_dword v0, v15, s[6:7]
.LBB4_162:
	s_or_b64 exec, exec, s[8:9]
                                        ; implicit-def: $vgpr4_vgpr5
                                        ; implicit-def: $vgpr0_vgpr1
                                        ; implicit-def: $vgpr14_vgpr15
.LBB4_163:
	s_andn2_saveexec_b64 s[4:5], s[4:5]
	s_cbranch_execz .LBB4_169
; %bb.164:
	v_cmp_lt_i64_e32 vcc, 11, v[0:1]
	s_and_saveexec_b64 s[8:9], vcc
	s_xor_b64 s[8:9], exec, s[8:9]
	s_cbranch_execz .LBB4_166
; %bb.165:
	v_mov_b32_e32 v0, 0
	global_store_dword v0, v14, s[6:7]
                                        ; implicit-def: $vgpr4_vgpr5
.LBB4_166:
	s_andn2_saveexec_b64 s[8:9], s[8:9]
	s_cbranch_execz .LBB4_168
; %bb.167:
	v_mov_b32_e32 v0, 0
	global_store_dword v0, v5, s[6:7]
.LBB4_168:
	s_or_b64 exec, exec, s[8:9]
.LBB4_169:
	s_or_b64 exec, exec, s[4:5]
.LBB4_170:
	s_or_b64 exec, exec, s[2:3]
                                        ; implicit-def: $vgpr0_vgpr1
                                        ; implicit-def: $vgpr16_vgpr17
                                        ; implicit-def: $vgpr8_vgpr9
                                        ; implicit-def: $vgpr6_vgpr7
                                        ; implicit-def: $vgpr12_vgpr13
                                        ; implicit-def: $vgpr10_vgpr11
                                        ; implicit-def: $vgpr4_vgpr5
.LBB4_171:
	s_andn2_saveexec_b64 s[0:1], s[0:1]
	s_cbranch_execz .LBB4_209
; %bb.172:
	v_cmp_lt_i64_e32 vcc, 5, v[0:1]
	s_and_saveexec_b64 s[0:1], vcc
	s_xor_b64 s[0:1], exec, s[0:1]
	s_cbranch_execz .LBB4_190
; %bb.173:
	v_cmp_lt_i64_e32 vcc, 7, v[0:1]
	s_and_saveexec_b64 s[2:3], vcc
	s_xor_b64 s[2:3], exec, s[2:3]
	;; [unrolled: 5-line block ×4, first 2 shown]
	s_cbranch_execz .LBB4_177
; %bb.176:
	v_mov_b32_e32 v0, 0
	global_store_dword v0, v4, s[6:7]
                                        ; implicit-def: $vgpr12_vgpr13
.LBB4_177:
	s_andn2_saveexec_b64 s[8:9], s[8:9]
	s_cbranch_execz .LBB4_179
; %bb.178:
	v_mov_b32_e32 v0, 0
	global_store_dword v0, v13, s[6:7]
.LBB4_179:
	s_or_b64 exec, exec, s[8:9]
                                        ; implicit-def: $vgpr12_vgpr13
.LBB4_180:
	s_andn2_saveexec_b64 s[4:5], s[4:5]
	s_cbranch_execz .LBB4_182
; %bb.181:
	v_mov_b32_e32 v0, 0
	global_store_dword v0, v12, s[6:7]
.LBB4_182:
	s_or_b64 exec, exec, s[4:5]
                                        ; implicit-def: $vgpr16_vgpr17
                                        ; implicit-def: $vgpr0_vgpr1
.LBB4_183:
	s_andn2_saveexec_b64 s[2:3], s[2:3]
	s_cbranch_execz .LBB4_189
; %bb.184:
	v_cmp_lt_i64_e32 vcc, 6, v[0:1]
	s_and_saveexec_b64 s[4:5], vcc
	s_xor_b64 s[4:5], exec, s[4:5]
	s_cbranch_execz .LBB4_186
; %bb.185:
	v_mov_b32_e32 v0, 0
	global_store_dword v0, v17, s[6:7]
                                        ; implicit-def: $vgpr16_vgpr17
.LBB4_186:
	s_andn2_saveexec_b64 s[4:5], s[4:5]
	s_cbranch_execz .LBB4_188
; %bb.187:
	v_mov_b32_e32 v0, 0
	global_store_dword v0, v16, s[6:7]
.LBB4_188:
	s_or_b64 exec, exec, s[4:5]
.LBB4_189:
	s_or_b64 exec, exec, s[2:3]
                                        ; implicit-def: $vgpr0_vgpr1
                                        ; implicit-def: $vgpr8_vgpr9
                                        ; implicit-def: $vgpr6_vgpr7
                                        ; implicit-def: $vgpr10_vgpr11
.LBB4_190:
	s_andn2_saveexec_b64 s[0:1], s[0:1]
	s_cbranch_execz .LBB4_209
; %bb.191:
	v_cmp_lt_i64_e32 vcc, 2, v[0:1]
	s_and_saveexec_b64 s[0:1], vcc
	s_xor_b64 s[0:1], exec, s[0:1]
	s_cbranch_execz .LBB4_201
; %bb.192:
	v_cmp_lt_i64_e32 vcc, 3, v[0:1]
	s_and_saveexec_b64 s[2:3], vcc
	s_xor_b64 s[2:3], exec, s[2:3]
	;; [unrolled: 5-line block ×3, first 2 shown]
	s_cbranch_execz .LBB4_195
; %bb.194:
	v_mov_b32_e32 v0, 0
	global_store_dword v0, v11, s[6:7]
                                        ; implicit-def: $vgpr10_vgpr11
.LBB4_195:
	s_andn2_saveexec_b64 s[4:5], s[4:5]
	s_cbranch_execz .LBB4_197
; %bb.196:
	v_mov_b32_e32 v0, 0
	global_store_dword v0, v10, s[6:7]
.LBB4_197:
	s_or_b64 exec, exec, s[4:5]
                                        ; implicit-def: $vgpr8_vgpr9
.LBB4_198:
	s_andn2_saveexec_b64 s[2:3], s[2:3]
	s_cbranch_execz .LBB4_200
; %bb.199:
	v_mov_b32_e32 v0, 0
	global_store_dword v0, v9, s[6:7]
.LBB4_200:
	s_or_b64 exec, exec, s[2:3]
                                        ; implicit-def: $vgpr0_vgpr1
                                        ; implicit-def: $vgpr8_vgpr9
                                        ; implicit-def: $vgpr6_vgpr7
.LBB4_201:
	s_andn2_saveexec_b64 s[0:1], s[0:1]
	s_cbranch_execz .LBB4_209
; %bb.202:
	v_cmp_lt_i64_e32 vcc, 1, v[0:1]
	s_and_saveexec_b64 s[0:1], vcc
	s_xor_b64 s[0:1], exec, s[0:1]
	s_cbranch_execz .LBB4_204
; %bb.203:
	v_mov_b32_e32 v0, 0
	global_store_dword v0, v8, s[6:7]
                                        ; implicit-def: $vgpr6_vgpr7
                                        ; implicit-def: $vgpr0_vgpr1
.LBB4_204:
	s_andn2_saveexec_b64 s[0:1], s[0:1]
	s_cbranch_execz .LBB4_209
; %bb.205:
	v_cmp_ne_u64_e32 vcc, 1, v[0:1]
	s_and_saveexec_b64 s[0:1], vcc
	s_xor_b64 s[0:1], exec, s[0:1]
	s_cbranch_execz .LBB4_207
; %bb.206:
	v_mov_b32_e32 v0, 0
	global_store_dword v0, v6, s[6:7]
                                        ; implicit-def: $vgpr6_vgpr7
.LBB4_207:
	s_andn2_saveexec_b64 s[0:1], s[0:1]
	s_cbranch_execz .LBB4_209
; %bb.208:
	v_mov_b32_e32 v0, 0
	global_store_dword v0, v7, s[6:7]
.LBB4_209:
	s_endpgm
	.section	.rodata,"a",@progbits
	.p2align	6, 0x0
	.amdhsa_kernel _ZN7rocprim6detail20lookback_scan_kernelILNS0_25lookback_scan_determinismE0ELb1ENS0_19wrapped_scan_configINS_14default_configEjEEPjS6_N6thrust4plusIvEEjjNS0_19lookback_scan_stateIjLb0ELb1EEEEEvT2_T3_mT5_T4_T7_jPT6_SI_bb
		.amdhsa_group_segment_fixed_size 21504
		.amdhsa_private_segment_fixed_size 0
		.amdhsa_kernarg_size 68
		.amdhsa_user_sgpr_count 2
		.amdhsa_user_sgpr_dispatch_ptr 0
		.amdhsa_user_sgpr_queue_ptr 0
		.amdhsa_user_sgpr_kernarg_segment_ptr 1
		.amdhsa_user_sgpr_dispatch_id 0
		.amdhsa_user_sgpr_kernarg_preload_length 0
		.amdhsa_user_sgpr_kernarg_preload_offset 0
		.amdhsa_user_sgpr_private_segment_size 0
		.amdhsa_uses_dynamic_stack 0
		.amdhsa_enable_private_segment 0
		.amdhsa_system_sgpr_workgroup_id_x 1
		.amdhsa_system_sgpr_workgroup_id_y 0
		.amdhsa_system_sgpr_workgroup_id_z 0
		.amdhsa_system_sgpr_workgroup_info 0
		.amdhsa_system_vgpr_workitem_id 0
		.amdhsa_next_free_vgpr 54
		.amdhsa_next_free_sgpr 26
		.amdhsa_accum_offset 56
		.amdhsa_reserve_vcc 1
		.amdhsa_float_round_mode_32 0
		.amdhsa_float_round_mode_16_64 0
		.amdhsa_float_denorm_mode_32 3
		.amdhsa_float_denorm_mode_16_64 3
		.amdhsa_dx10_clamp 1
		.amdhsa_ieee_mode 1
		.amdhsa_fp16_overflow 0
		.amdhsa_tg_split 0
		.amdhsa_exception_fp_ieee_invalid_op 0
		.amdhsa_exception_fp_denorm_src 0
		.amdhsa_exception_fp_ieee_div_zero 0
		.amdhsa_exception_fp_ieee_overflow 0
		.amdhsa_exception_fp_ieee_underflow 0
		.amdhsa_exception_fp_ieee_inexact 0
		.amdhsa_exception_int_div_zero 0
	.end_amdhsa_kernel
	.section	.text._ZN7rocprim6detail20lookback_scan_kernelILNS0_25lookback_scan_determinismE0ELb1ENS0_19wrapped_scan_configINS_14default_configEjEEPjS6_N6thrust4plusIvEEjjNS0_19lookback_scan_stateIjLb0ELb1EEEEEvT2_T3_mT5_T4_T7_jPT6_SI_bb,"axG",@progbits,_ZN7rocprim6detail20lookback_scan_kernelILNS0_25lookback_scan_determinismE0ELb1ENS0_19wrapped_scan_configINS_14default_configEjEEPjS6_N6thrust4plusIvEEjjNS0_19lookback_scan_stateIjLb0ELb1EEEEEvT2_T3_mT5_T4_T7_jPT6_SI_bb,comdat
.Lfunc_end4:
	.size	_ZN7rocprim6detail20lookback_scan_kernelILNS0_25lookback_scan_determinismE0ELb1ENS0_19wrapped_scan_configINS_14default_configEjEEPjS6_N6thrust4plusIvEEjjNS0_19lookback_scan_stateIjLb0ELb1EEEEEvT2_T3_mT5_T4_T7_jPT6_SI_bb, .Lfunc_end4-_ZN7rocprim6detail20lookback_scan_kernelILNS0_25lookback_scan_determinismE0ELb1ENS0_19wrapped_scan_configINS_14default_configEjEEPjS6_N6thrust4plusIvEEjjNS0_19lookback_scan_stateIjLb0ELb1EEEEEvT2_T3_mT5_T4_T7_jPT6_SI_bb
                                        ; -- End function
	.section	.AMDGPU.csdata,"",@progbits
; Kernel info:
; codeLenInByte = 6936
; NumSgprs: 32
; NumVgprs: 54
; NumAgprs: 0
; TotalNumVgprs: 54
; ScratchSize: 0
; MemoryBound: 0
; FloatMode: 240
; IeeeMode: 1
; LDSByteSize: 21504 bytes/workgroup (compile time only)
; SGPRBlocks: 3
; VGPRBlocks: 6
; NumSGPRsForWavesPerEU: 32
; NumVGPRsForWavesPerEU: 54
; AccumOffset: 56
; Occupancy: 3
; WaveLimiterHint : 1
; COMPUTE_PGM_RSRC2:SCRATCH_EN: 0
; COMPUTE_PGM_RSRC2:USER_SGPR: 2
; COMPUTE_PGM_RSRC2:TRAP_HANDLER: 0
; COMPUTE_PGM_RSRC2:TGID_X_EN: 1
; COMPUTE_PGM_RSRC2:TGID_Y_EN: 0
; COMPUTE_PGM_RSRC2:TGID_Z_EN: 0
; COMPUTE_PGM_RSRC2:TIDIG_COMP_CNT: 0
; COMPUTE_PGM_RSRC3_GFX90A:ACCUM_OFFSET: 13
; COMPUTE_PGM_RSRC3_GFX90A:TG_SPLIT: 0
	.section	.text._ZN7rocprim6detail16transform_kernelINS0_24wrapped_transform_configINS_14default_configEjEEjPjS5_NS_8identityIjEEEEvT1_mT2_T3_,"axG",@progbits,_ZN7rocprim6detail16transform_kernelINS0_24wrapped_transform_configINS_14default_configEjEEjPjS5_NS_8identityIjEEEEvT1_mT2_T3_,comdat
	.protected	_ZN7rocprim6detail16transform_kernelINS0_24wrapped_transform_configINS_14default_configEjEEjPjS5_NS_8identityIjEEEEvT1_mT2_T3_ ; -- Begin function _ZN7rocprim6detail16transform_kernelINS0_24wrapped_transform_configINS_14default_configEjEEjPjS5_NS_8identityIjEEEEvT1_mT2_T3_
	.globl	_ZN7rocprim6detail16transform_kernelINS0_24wrapped_transform_configINS_14default_configEjEEjPjS5_NS_8identityIjEEEEvT1_mT2_T3_
	.p2align	8
	.type	_ZN7rocprim6detail16transform_kernelINS0_24wrapped_transform_configINS_14default_configEjEEjPjS5_NS_8identityIjEEEEvT1_mT2_T3_,@function
_ZN7rocprim6detail16transform_kernelINS0_24wrapped_transform_configINS_14default_configEjEEjPjS5_NS_8identityIjEEEEvT1_mT2_T3_: ; @_ZN7rocprim6detail16transform_kernelINS0_24wrapped_transform_configINS_14default_configEjEEjPjS5_NS_8identityIjEEEEvT1_mT2_T3_
; %bb.0:
	s_load_dword s3, s[0:1], 0x20
	s_load_dwordx4 s[4:7], s[0:1], 0x0
	s_load_dwordx2 s[8:9], s[0:1], 0x10
	s_lshl_b32 s0, s2, 10
	s_mov_b32 s1, 0
	s_waitcnt lgkmcnt(0)
	s_add_i32 s3, s3, -1
	s_lshl_b64 s[10:11], s[0:1], 2
	s_add_u32 s4, s4, s10
	s_addc_u32 s5, s5, s11
	v_mov_b32_e32 v7, 0
	v_lshlrev_b32_e32 v6, 2, v0
	s_cmp_lg_u32 s2, s3
	v_lshl_add_u64 v[8:9], s[4:5], 0, v[6:7]
	s_cbranch_scc0 .LBB5_2
; %bb.1:
	global_load_dword v2, v[8:9], off
	global_load_dword v3, v[8:9], off offset:1024
	global_load_dword v4, v[8:9], off offset:2048
	;; [unrolled: 1-line block ×3, first 2 shown]
	s_add_u32 s4, s8, s10
	s_addc_u32 s5, s9, s11
	s_mov_b64 s[12:13], -1
	s_waitcnt vmcnt(3)
	global_store_dword v6, v2, s[4:5]
	s_waitcnt vmcnt(3)
	global_store_dword v6, v3, s[4:5] offset:1024
	s_waitcnt vmcnt(3)
	global_store_dword v6, v4, s[4:5] offset:2048
	s_cbranch_execz .LBB5_3
	s_branch .LBB5_17
.LBB5_2:
	s_mov_b64 s[12:13], 0
                                        ; implicit-def: $vgpr1
.LBB5_3:
	s_sub_i32 s6, s6, s0
	v_cmp_gt_u32_e32 vcc, s6, v0
                                        ; implicit-def: $vgpr2_vgpr3_vgpr4_vgpr5
	s_and_saveexec_b64 s[0:1], vcc
	s_cbranch_execz .LBB5_5
; %bb.4:
	global_load_dword v2, v[8:9], off
.LBB5_5:
	s_or_b64 exec, exec, s[0:1]
	s_waitcnt vmcnt(3)
	v_or_b32_e32 v1, 0x100, v0
	v_cmp_gt_u32_e64 s[0:1], s6, v1
	s_and_saveexec_b64 s[2:3], s[0:1]
	s_cbranch_execz .LBB5_7
; %bb.6:
	global_load_dword v3, v[8:9], off offset:1024
.LBB5_7:
	s_or_b64 exec, exec, s[2:3]
	v_or_b32_e32 v1, 0x200, v0
	v_cmp_gt_u32_e64 s[2:3], s6, v1
	s_and_saveexec_b64 s[4:5], s[2:3]
	s_cbranch_execz .LBB5_9
; %bb.8:
	global_load_dword v4, v[8:9], off offset:2048
.LBB5_9:
	s_or_b64 exec, exec, s[4:5]
	;; [unrolled: 8-line block ×3, first 2 shown]
	s_add_u32 s6, s8, s10
	s_addc_u32 s7, s9, s11
	v_mov_b32_e32 v7, 0
	v_lshl_add_u64 v[0:1], s[6:7], 0, v[6:7]
	s_and_saveexec_b64 s[6:7], vcc
	s_cbranch_execnz .LBB5_20
; %bb.12:
	s_or_b64 exec, exec, s[6:7]
	s_and_saveexec_b64 s[6:7], s[0:1]
	s_cbranch_execnz .LBB5_21
.LBB5_13:
	s_or_b64 exec, exec, s[6:7]
	s_and_saveexec_b64 s[0:1], s[2:3]
	s_cbranch_execnz .LBB5_22
.LBB5_14:
	s_or_b64 exec, exec, s[0:1]
                                        ; implicit-def: $vgpr1
	s_and_saveexec_b64 s[0:1], s[4:5]
	s_cbranch_execz .LBB5_16
.LBB5_15:
	s_waitcnt vmcnt(0)
	v_cndmask_b32_e64 v1, v5, v5, s[4:5]
	s_or_b64 s[12:13], s[12:13], exec
.LBB5_16:
	s_or_b64 exec, exec, s[0:1]
.LBB5_17:
	s_and_saveexec_b64 s[0:1], s[12:13]
	s_cbranch_execnz .LBB5_19
; %bb.18:
	s_endpgm
.LBB5_19:
	s_add_u32 s0, s8, s10
	s_addc_u32 s1, s9, s11
	s_waitcnt vmcnt(3)
	global_store_dword v6, v1, s[0:1] offset:3072
	s_endpgm
.LBB5_20:
	s_waitcnt vmcnt(0)
	global_store_dword v[0:1], v2, off
	s_or_b64 exec, exec, s[6:7]
	s_and_saveexec_b64 s[6:7], s[0:1]
	s_cbranch_execz .LBB5_13
.LBB5_21:
	s_waitcnt vmcnt(0)
	global_store_dword v[0:1], v3, off offset:1024
	s_or_b64 exec, exec, s[6:7]
	s_and_saveexec_b64 s[0:1], s[2:3]
	s_cbranch_execz .LBB5_14
.LBB5_22:
	s_waitcnt vmcnt(0)
	v_cndmask_b32_e64 v2, v4, v4, s[2:3]
	global_store_dword v[0:1], v2, off offset:2048
	s_or_b64 exec, exec, s[0:1]
                                        ; implicit-def: $vgpr1
	s_and_saveexec_b64 s[0:1], s[4:5]
	s_cbranch_execnz .LBB5_15
	s_branch .LBB5_16
	.section	.rodata,"a",@progbits
	.p2align	6, 0x0
	.amdhsa_kernel _ZN7rocprim6detail16transform_kernelINS0_24wrapped_transform_configINS_14default_configEjEEjPjS5_NS_8identityIjEEEEvT1_mT2_T3_
		.amdhsa_group_segment_fixed_size 0
		.amdhsa_private_segment_fixed_size 0
		.amdhsa_kernarg_size 288
		.amdhsa_user_sgpr_count 2
		.amdhsa_user_sgpr_dispatch_ptr 0
		.amdhsa_user_sgpr_queue_ptr 0
		.amdhsa_user_sgpr_kernarg_segment_ptr 1
		.amdhsa_user_sgpr_dispatch_id 0
		.amdhsa_user_sgpr_kernarg_preload_length 0
		.amdhsa_user_sgpr_kernarg_preload_offset 0
		.amdhsa_user_sgpr_private_segment_size 0
		.amdhsa_uses_dynamic_stack 0
		.amdhsa_enable_private_segment 0
		.amdhsa_system_sgpr_workgroup_id_x 1
		.amdhsa_system_sgpr_workgroup_id_y 0
		.amdhsa_system_sgpr_workgroup_id_z 0
		.amdhsa_system_sgpr_workgroup_info 0
		.amdhsa_system_vgpr_workitem_id 0
		.amdhsa_next_free_vgpr 10
		.amdhsa_next_free_sgpr 14
		.amdhsa_accum_offset 12
		.amdhsa_reserve_vcc 1
		.amdhsa_float_round_mode_32 0
		.amdhsa_float_round_mode_16_64 0
		.amdhsa_float_denorm_mode_32 3
		.amdhsa_float_denorm_mode_16_64 3
		.amdhsa_dx10_clamp 1
		.amdhsa_ieee_mode 1
		.amdhsa_fp16_overflow 0
		.amdhsa_tg_split 0
		.amdhsa_exception_fp_ieee_invalid_op 0
		.amdhsa_exception_fp_denorm_src 0
		.amdhsa_exception_fp_ieee_div_zero 0
		.amdhsa_exception_fp_ieee_overflow 0
		.amdhsa_exception_fp_ieee_underflow 0
		.amdhsa_exception_fp_ieee_inexact 0
		.amdhsa_exception_int_div_zero 0
	.end_amdhsa_kernel
	.section	.text._ZN7rocprim6detail16transform_kernelINS0_24wrapped_transform_configINS_14default_configEjEEjPjS5_NS_8identityIjEEEEvT1_mT2_T3_,"axG",@progbits,_ZN7rocprim6detail16transform_kernelINS0_24wrapped_transform_configINS_14default_configEjEEjPjS5_NS_8identityIjEEEEvT1_mT2_T3_,comdat
.Lfunc_end5:
	.size	_ZN7rocprim6detail16transform_kernelINS0_24wrapped_transform_configINS_14default_configEjEEjPjS5_NS_8identityIjEEEEvT1_mT2_T3_, .Lfunc_end5-_ZN7rocprim6detail16transform_kernelINS0_24wrapped_transform_configINS_14default_configEjEEjPjS5_NS_8identityIjEEEEvT1_mT2_T3_
                                        ; -- End function
	.section	.AMDGPU.csdata,"",@progbits
; Kernel info:
; codeLenInByte = 512
; NumSgprs: 20
; NumVgprs: 10
; NumAgprs: 0
; TotalNumVgprs: 10
; ScratchSize: 0
; MemoryBound: 0
; FloatMode: 240
; IeeeMode: 1
; LDSByteSize: 0 bytes/workgroup (compile time only)
; SGPRBlocks: 2
; VGPRBlocks: 1
; NumSGPRsForWavesPerEU: 20
; NumVGPRsForWavesPerEU: 10
; AccumOffset: 12
; Occupancy: 8
; WaveLimiterHint : 1
; COMPUTE_PGM_RSRC2:SCRATCH_EN: 0
; COMPUTE_PGM_RSRC2:USER_SGPR: 2
; COMPUTE_PGM_RSRC2:TRAP_HANDLER: 0
; COMPUTE_PGM_RSRC2:TGID_X_EN: 1
; COMPUTE_PGM_RSRC2:TGID_Y_EN: 0
; COMPUTE_PGM_RSRC2:TGID_Z_EN: 0
; COMPUTE_PGM_RSRC2:TIDIG_COMP_CNT: 0
; COMPUTE_PGM_RSRC3_GFX90A:ACCUM_OFFSET: 2
; COMPUTE_PGM_RSRC3_GFX90A:TG_SPLIT: 0
	.section	.text._ZN7rocprim6detail18single_scan_kernelILb1ENS0_19wrapped_scan_configINS_14default_configEjEEPjS5_N6thrust4plusIvEEjjEEvT1_mT4_T2_T3_,"axG",@progbits,_ZN7rocprim6detail18single_scan_kernelILb1ENS0_19wrapped_scan_configINS_14default_configEjEEPjS5_N6thrust4plusIvEEjjEEvT1_mT4_T2_T3_,comdat
	.protected	_ZN7rocprim6detail18single_scan_kernelILb1ENS0_19wrapped_scan_configINS_14default_configEjEEPjS5_N6thrust4plusIvEEjjEEvT1_mT4_T2_T3_ ; -- Begin function _ZN7rocprim6detail18single_scan_kernelILb1ENS0_19wrapped_scan_configINS_14default_configEjEEPjS5_N6thrust4plusIvEEjjEEvT1_mT4_T2_T3_
	.globl	_ZN7rocprim6detail18single_scan_kernelILb1ENS0_19wrapped_scan_configINS_14default_configEjEEPjS5_N6thrust4plusIvEEjjEEvT1_mT4_T2_T3_
	.p2align	8
	.type	_ZN7rocprim6detail18single_scan_kernelILb1ENS0_19wrapped_scan_configINS_14default_configEjEEPjS5_N6thrust4plusIvEEjjEEvT1_mT4_T2_T3_,@function
_ZN7rocprim6detail18single_scan_kernelILb1ENS0_19wrapped_scan_configINS_14default_configEjEEPjS5_N6thrust4plusIvEEjjEEvT1_mT4_T2_T3_: ; @_ZN7rocprim6detail18single_scan_kernelILb1ENS0_19wrapped_scan_configINS_14default_configEjEEPjS5_N6thrust4plusIvEEjjEEvT1_mT4_T2_T3_
; %bb.0:
	s_load_dwordx4 s[44:47], s[0:1], 0x0
	v_mov_b32_e32 v3, 0
	v_lshlrev_b32_e32 v2, 2, v0
	s_waitcnt lgkmcnt(0)
	s_load_dword s33, s[44:45], 0x0
	v_lshl_add_u64 v[4:5], s[44:45], 0, v[2:3]
	v_cmp_gt_u32_e64 s[16:17], s46, v0
	s_waitcnt lgkmcnt(0)
	v_mov_b32_e32 v1, s33
	s_and_saveexec_b64 s[2:3], s[16:17]
	s_cbranch_execz .LBB6_2
; %bb.1:
	global_load_dword v1, v[4:5], off
.LBB6_2:
	s_or_b64 exec, exec, s[2:3]
	v_or_b32_e32 v3, 0x100, v0
	v_cmp_gt_u32_e64 s[2:3], s46, v3
	v_mov_b32_e32 v3, s33
	s_and_saveexec_b64 s[4:5], s[2:3]
	s_cbranch_execz .LBB6_4
; %bb.3:
	global_load_dword v3, v[4:5], off offset:1024
.LBB6_4:
	s_or_b64 exec, exec, s[4:5]
	v_or_b32_e32 v6, 0x200, v0
	v_cmp_gt_u32_e64 s[4:5], s46, v6
	v_mov_b32_e32 v6, s33
	s_and_saveexec_b64 s[6:7], s[4:5]
	s_cbranch_execz .LBB6_6
; %bb.5:
	global_load_dword v6, v[4:5], off offset:2048
.LBB6_6:
	;; [unrolled: 9-line block ×3, first 2 shown]
	s_or_b64 exec, exec, s[8:9]
	v_or_b32_e32 v8, 0x400, v0
	v_cmp_gt_u32_e64 s[8:9], s46, v8
	v_mov_b32_e32 v8, s33
	s_and_saveexec_b64 s[10:11], s[8:9]
	s_cbranch_execz .LBB6_10
; %bb.9:
	v_add_co_u32_e32 v8, vcc, 0x1000, v4
	s_nop 1
	v_addc_co_u32_e32 v9, vcc, 0, v5, vcc
	global_load_dword v8, v[8:9], off
.LBB6_10:
	s_or_b64 exec, exec, s[10:11]
	v_or_b32_e32 v9, 0x500, v0
	v_cmp_gt_u32_e64 s[10:11], s46, v9
	v_mov_b32_e32 v9, s33
	s_and_saveexec_b64 s[12:13], s[10:11]
	s_cbranch_execz .LBB6_12
; %bb.11:
	v_add_co_u32_e32 v10, vcc, 0x1000, v4
	s_nop 1
	v_addc_co_u32_e32 v11, vcc, 0, v5, vcc
	global_load_dword v9, v[10:11], off offset:1024
.LBB6_12:
	s_or_b64 exec, exec, s[12:13]
	v_or_b32_e32 v10, 0x600, v0
	v_cmp_gt_u32_e64 s[12:13], s46, v10
	v_mov_b32_e32 v10, s33
	s_and_saveexec_b64 s[14:15], s[12:13]
	s_cbranch_execz .LBB6_14
; %bb.13:
	v_add_co_u32_e32 v10, vcc, 0x1000, v4
	s_nop 1
	v_addc_co_u32_e32 v11, vcc, 0, v5, vcc
	global_load_dword v10, v[10:11], off offset:2048
.LBB6_14:
	s_or_b64 exec, exec, s[14:15]
	v_or_b32_e32 v11, 0x700, v0
	v_cmp_gt_u32_e64 s[14:15], s46, v11
	v_mov_b32_e32 v11, s33
	s_and_saveexec_b64 s[18:19], s[14:15]
	s_cbranch_execz .LBB6_16
; %bb.15:
	v_add_co_u32_e32 v12, vcc, 0x1000, v4
	s_nop 1
	v_addc_co_u32_e32 v13, vcc, 0, v5, vcc
	global_load_dword v11, v[12:13], off offset:3072
.LBB6_16:
	s_or_b64 exec, exec, s[18:19]
	v_or_b32_e32 v12, 0x800, v0
	v_cmp_gt_u32_e64 s[18:19], s46, v12
	v_mov_b32_e32 v12, s33
	s_and_saveexec_b64 s[20:21], s[18:19]
	s_cbranch_execz .LBB6_18
; %bb.17:
	v_add_co_u32_e32 v12, vcc, 0x2000, v4
	s_nop 1
	v_addc_co_u32_e32 v13, vcc, 0, v5, vcc
	global_load_dword v12, v[12:13], off
.LBB6_18:
	s_or_b64 exec, exec, s[20:21]
	v_or_b32_e32 v13, 0x900, v0
	v_cmp_gt_u32_e64 s[20:21], s46, v13
	v_mov_b32_e32 v13, s33
	s_and_saveexec_b64 s[22:23], s[20:21]
	s_cbranch_execz .LBB6_20
; %bb.19:
	v_add_co_u32_e32 v14, vcc, 0x2000, v4
	s_nop 1
	v_addc_co_u32_e32 v15, vcc, 0, v5, vcc
	global_load_dword v13, v[14:15], off offset:1024
.LBB6_20:
	s_or_b64 exec, exec, s[22:23]
	v_or_b32_e32 v14, 0xa00, v0
	v_cmp_gt_u32_e64 s[22:23], s46, v14
	v_mov_b32_e32 v14, s33
	s_and_saveexec_b64 s[24:25], s[22:23]
	s_cbranch_execz .LBB6_22
; %bb.21:
	v_add_co_u32_e32 v14, vcc, 0x2000, v4
	s_nop 1
	v_addc_co_u32_e32 v15, vcc, 0, v5, vcc
	global_load_dword v14, v[14:15], off offset:2048
.LBB6_22:
	s_or_b64 exec, exec, s[24:25]
	v_or_b32_e32 v15, 0xb00, v0
	v_cmp_gt_u32_e64 s[24:25], s46, v15
	v_mov_b32_e32 v15, s33
	s_and_saveexec_b64 s[26:27], s[24:25]
	s_cbranch_execz .LBB6_24
; %bb.23:
	v_add_co_u32_e32 v16, vcc, 0x2000, v4
	s_nop 1
	v_addc_co_u32_e32 v17, vcc, 0, v5, vcc
	global_load_dword v15, v[16:17], off offset:3072
.LBB6_24:
	s_or_b64 exec, exec, s[26:27]
	v_or_b32_e32 v16, 0xc00, v0
	v_cmp_gt_u32_e64 s[26:27], s46, v16
	v_mov_b32_e32 v16, s33
	s_and_saveexec_b64 s[28:29], s[26:27]
	s_cbranch_execz .LBB6_26
; %bb.25:
	v_add_co_u32_e32 v16, vcc, 0x3000, v4
	s_nop 1
	v_addc_co_u32_e32 v17, vcc, 0, v5, vcc
	global_load_dword v16, v[16:17], off
.LBB6_26:
	s_or_b64 exec, exec, s[28:29]
	v_or_b32_e32 v17, 0xd00, v0
	v_cmp_gt_u32_e64 s[28:29], s46, v17
	v_mov_b32_e32 v17, s33
	s_and_saveexec_b64 s[30:31], s[28:29]
	s_cbranch_execz .LBB6_28
; %bb.27:
	v_add_co_u32_e32 v18, vcc, 0x3000, v4
	s_nop 1
	v_addc_co_u32_e32 v19, vcc, 0, v5, vcc
	global_load_dword v17, v[18:19], off offset:1024
.LBB6_28:
	s_or_b64 exec, exec, s[30:31]
	v_or_b32_e32 v18, 0xe00, v0
	v_cmp_gt_u32_e64 s[30:31], s46, v18
	v_mov_b32_e32 v18, s33
	s_and_saveexec_b64 s[34:35], s[30:31]
	s_cbranch_execz .LBB6_30
; %bb.29:
	v_add_co_u32_e32 v18, vcc, 0x3000, v4
	s_nop 1
	v_addc_co_u32_e32 v19, vcc, 0, v5, vcc
	global_load_dword v18, v[18:19], off offset:2048
.LBB6_30:
	s_or_b64 exec, exec, s[34:35]
	v_or_b32_e32 v19, 0xf00, v0
	v_cmp_gt_u32_e64 s[34:35], s46, v19
	v_mov_b32_e32 v19, s33
	s_and_saveexec_b64 s[36:37], s[34:35]
	s_cbranch_execz .LBB6_32
; %bb.31:
	v_add_co_u32_e32 v20, vcc, 0x3000, v4
	s_nop 1
	v_addc_co_u32_e32 v21, vcc, 0, v5, vcc
	global_load_dword v19, v[20:21], off offset:3072
.LBB6_32:
	s_or_b64 exec, exec, s[36:37]
	v_or_b32_e32 v20, 0x1000, v0
	v_cmp_gt_u32_e64 s[36:37], s46, v20
	v_mov_b32_e32 v20, s33
	s_and_saveexec_b64 s[38:39], s[36:37]
	s_cbranch_execz .LBB6_34
; %bb.33:
	v_add_co_u32_e32 v20, vcc, 0x4000, v4
	s_nop 1
	v_addc_co_u32_e32 v21, vcc, 0, v5, vcc
	global_load_dword v20, v[20:21], off
.LBB6_34:
	s_or_b64 exec, exec, s[38:39]
	v_or_b32_e32 v21, 0x1100, v0
	v_cmp_gt_u32_e64 s[38:39], s46, v21
	v_mov_b32_e32 v21, s33
	s_and_saveexec_b64 s[40:41], s[38:39]
	s_cbranch_execz .LBB6_36
; %bb.35:
	v_add_co_u32_e32 v22, vcc, 0x4000, v4
	s_nop 1
	v_addc_co_u32_e32 v23, vcc, 0, v5, vcc
	global_load_dword v21, v[22:23], off offset:1024
.LBB6_36:
	s_or_b64 exec, exec, s[40:41]
	v_or_b32_e32 v22, 0x1200, v0
	v_cmp_gt_u32_e64 s[40:41], s46, v22
	v_mov_b32_e32 v22, s33
	s_and_saveexec_b64 s[42:43], s[40:41]
	s_cbranch_execz .LBB6_38
; %bb.37:
	v_add_co_u32_e32 v22, vcc, 0x4000, v4
	s_nop 1
	v_addc_co_u32_e32 v23, vcc, 0, v5, vcc
	global_load_dword v22, v[22:23], off offset:2048
.LBB6_38:
	s_or_b64 exec, exec, s[42:43]
	v_or_b32_e32 v23, 0x1300, v0
	v_cmp_gt_u32_e64 s[42:43], s46, v23
	v_mov_b32_e32 v23, s33
	s_and_saveexec_b64 s[44:45], s[42:43]
	s_cbranch_execz .LBB6_40
; %bb.39:
	v_add_co_u32_e32 v24, vcc, 0x4000, v4
	s_nop 1
	v_addc_co_u32_e32 v25, vcc, 0, v5, vcc
	global_load_dword v23, v[24:25], off offset:3072
.LBB6_40:
	s_or_b64 exec, exec, s[44:45]
	v_or_b32_e32 v24, 0x1400, v0
	v_cmp_gt_u32_e64 s[44:45], s46, v24
	v_mov_b32_e32 v24, s33
	s_and_saveexec_b64 s[46:47], s[44:45]
	s_cbranch_execz .LBB6_42
; %bb.41:
	v_add_co_u32_e32 v4, vcc, 0x5000, v4
	s_nop 1
	v_addc_co_u32_e32 v5, vcc, 0, v5, vcc
	global_load_dword v24, v[4:5], off
.LBB6_42:
	s_or_b64 exec, exec, s[46:47]
	s_movk_i32 s33, 0x50
	s_waitcnt vmcnt(0)
	ds_write2st64_b32 v2, v1, v3 offset1:4
	ds_write2st64_b32 v2, v6, v7 offset0:8 offset1:12
	ds_write2st64_b32 v2, v8, v9 offset0:16 offset1:20
	;; [unrolled: 1-line block ×9, first 2 shown]
	ds_write_b32 v2, v24 offset:20480
	v_mad_u32_u24 v1, v0, s33, v2
	s_waitcnt lgkmcnt(0)
	s_barrier
	ds_read2_b32 v[22:23], v1 offset1:1
	ds_read2_b32 v[20:21], v1 offset0:2 offset1:3
	ds_read2_b32 v[18:19], v1 offset0:4 offset1:5
	;; [unrolled: 1-line block ×9, first 2 shown]
	ds_read_b32 v1, v1 offset:80
	s_waitcnt lgkmcnt(9)
	v_add3_u32 v3, v23, v22, v20
	s_waitcnt lgkmcnt(8)
	v_add3_u32 v3, v3, v21, v18
	;; [unrolled: 2-line block ×10, first 2 shown]
	v_mbcnt_lo_u32_b32 v1, -1, 0
	v_mbcnt_hi_u32_b32 v1, -1, v1
	v_and_b32_e32 v24, 15, v1
	v_mov_b32_dpp v25, v3 row_shr:1 row_mask:0xf bank_mask:0xf
	v_cmp_ne_u32_e32 vcc, 0, v24
	s_barrier
	s_nop 0
	v_cndmask_b32_e32 v25, 0, v25, vcc
	v_add_u32_e32 v3, v25, v3
	v_cmp_lt_u32_e32 vcc, 1, v24
	s_nop 0
	v_mov_b32_dpp v25, v3 row_shr:2 row_mask:0xf bank_mask:0xf
	v_cndmask_b32_e32 v25, 0, v25, vcc
	v_add_u32_e32 v3, v3, v25
	v_cmp_lt_u32_e32 vcc, 3, v24
	s_nop 0
	v_mov_b32_dpp v25, v3 row_shr:4 row_mask:0xf bank_mask:0xf
	;; [unrolled: 5-line block ×3, first 2 shown]
	v_cndmask_b32_e32 v24, 0, v25, vcc
	v_add_u32_e32 v3, v3, v24
	v_bfe_i32 v25, v1, 4, 1
	v_cmp_lt_u32_e32 vcc, 31, v1
	v_mov_b32_dpp v24, v3 row_bcast:15 row_mask:0xf bank_mask:0xf
	v_and_b32_e32 v24, v25, v24
	v_add_u32_e32 v3, v3, v24
	v_lshrrev_b32_e32 v25, 6, v0
	s_nop 0
	v_mov_b32_dpp v24, v3 row_bcast:31 row_mask:0xf bank_mask:0xf
	v_cndmask_b32_e32 v24, 0, v24, vcc
	v_add_u32_e32 v24, v3, v24
	v_or_b32_e32 v3, 63, v0
	v_cmp_eq_u32_e32 vcc, v3, v0
	s_and_saveexec_b64 s[46:47], vcc
	s_cbranch_execz .LBB6_44
; %bb.43:
	v_lshlrev_b32_e32 v3, 2, v25
	ds_write_b32 v3, v24
.LBB6_44:
	s_or_b64 exec, exec, s[46:47]
	v_cmp_gt_u32_e32 vcc, 4, v0
	s_waitcnt lgkmcnt(0)
	s_barrier
	s_and_saveexec_b64 s[46:47], vcc
	s_cbranch_execz .LBB6_46
; %bb.45:
	ds_read_b32 v3, v2
	v_and_b32_e32 v26, 3, v1
	v_cmp_ne_u32_e32 vcc, 0, v26
	s_waitcnt lgkmcnt(0)
	v_mov_b32_dpp v27, v3 row_shr:1 row_mask:0xf bank_mask:0xf
	v_cndmask_b32_e32 v27, 0, v27, vcc
	v_add_u32_e32 v3, v27, v3
	v_cmp_lt_u32_e32 vcc, 1, v26
	s_nop 0
	v_mov_b32_dpp v27, v3 row_shr:2 row_mask:0xf bank_mask:0xf
	v_cndmask_b32_e32 v26, 0, v27, vcc
	v_add_u32_e32 v3, v3, v26
	ds_write_b32 v2, v3
.LBB6_46:
	s_or_b64 exec, exec, s[46:47]
	s_load_dword s33, s[0:1], 0x10
	v_mul_u32_u24_e32 v3, 0x50, v0
	v_cmp_lt_u32_e32 vcc, 63, v0
	s_waitcnt lgkmcnt(0)
	s_barrier
	v_mov_b32_e32 v26, s33
	s_and_saveexec_b64 s[46:47], vcc
	s_cbranch_execz .LBB6_48
; %bb.47:
	v_lshl_add_u32 v25, v25, 2, -4
	ds_read_b32 v25, v25
	s_waitcnt lgkmcnt(0)
	v_add_u32_e32 v26, s33, v25
.LBB6_48:
	s_or_b64 exec, exec, s[46:47]
	v_add_u32_e32 v25, -1, v1
	v_and_b32_e32 v27, 64, v1
	v_cmp_lt_i32_e32 vcc, v25, v27
	v_add_u32_e32 v24, v26, v24
	v_add_u32_e32 v3, v2, v3
	v_cndmask_b32_e32 v25, v25, v1, vcc
	v_lshlrev_b32_e32 v25, 2, v25
	ds_bpermute_b32 v24, v25, v24
	v_cmp_eq_u32_e32 vcc, 0, v1
	s_waitcnt lgkmcnt(0)
	s_barrier
	v_cndmask_b32_e32 v1, v24, v26, vcc
	v_mov_b32_e32 v24, s33
	v_cmp_eq_u32_e32 vcc, 0, v0
	s_load_dwordx2 s[0:1], s[0:1], 0x18
	s_nop 0
	v_cndmask_b32_e32 v0, v1, v24, vcc
	v_add_u32_e32 v1, v0, v22
	v_add_u32_e32 v22, v1, v23
	;; [unrolled: 1-line block ×20, first 2 shown]
	ds_write2_b32 v3, v0, v1 offset1:1
	ds_write2_b32 v3, v22, v20 offset0:2 offset1:3
	ds_write2_b32 v3, v21, v18 offset0:4 offset1:5
	;; [unrolled: 1-line block ×9, first 2 shown]
	ds_write_b32 v3, v5 offset:80
	s_waitcnt lgkmcnt(0)
	s_barrier
	ds_read2st64_b32 v[22:23], v2 offset0:4 offset1:8
	ds_read2st64_b32 v[20:21], v2 offset0:12 offset1:16
	;; [unrolled: 1-line block ×10, first 2 shown]
	v_mov_b32_e32 v3, 0
	v_lshl_add_u64 v[4:5], s[0:1], 0, v[2:3]
	s_and_saveexec_b64 s[0:1], s[16:17]
	s_cbranch_execnz .LBB6_70
; %bb.49:
	s_or_b64 exec, exec, s[0:1]
	s_and_saveexec_b64 s[0:1], s[2:3]
	s_cbranch_execnz .LBB6_71
.LBB6_50:
	s_or_b64 exec, exec, s[0:1]
	s_and_saveexec_b64 s[0:1], s[4:5]
	s_cbranch_execnz .LBB6_72
.LBB6_51:
	s_or_b64 exec, exec, s[0:1]
	s_and_saveexec_b64 s[0:1], s[6:7]
	s_cbranch_execnz .LBB6_73
.LBB6_52:
	s_or_b64 exec, exec, s[0:1]
	s_and_saveexec_b64 s[0:1], s[8:9]
	s_cbranch_execnz .LBB6_74
.LBB6_53:
	s_or_b64 exec, exec, s[0:1]
	s_and_saveexec_b64 s[0:1], s[10:11]
	s_cbranch_execnz .LBB6_75
.LBB6_54:
	s_or_b64 exec, exec, s[0:1]
	s_and_saveexec_b64 s[0:1], s[12:13]
	s_cbranch_execnz .LBB6_76
.LBB6_55:
	s_or_b64 exec, exec, s[0:1]
	s_and_saveexec_b64 s[0:1], s[14:15]
	s_cbranch_execnz .LBB6_77
.LBB6_56:
	s_or_b64 exec, exec, s[0:1]
	s_and_saveexec_b64 s[0:1], s[18:19]
	s_cbranch_execnz .LBB6_78
.LBB6_57:
	s_or_b64 exec, exec, s[0:1]
	s_and_saveexec_b64 s[0:1], s[20:21]
	s_cbranch_execnz .LBB6_79
.LBB6_58:
	s_or_b64 exec, exec, s[0:1]
	s_and_saveexec_b64 s[0:1], s[22:23]
	s_cbranch_execnz .LBB6_80
.LBB6_59:
	s_or_b64 exec, exec, s[0:1]
	s_and_saveexec_b64 s[0:1], s[24:25]
	s_cbranch_execnz .LBB6_81
.LBB6_60:
	s_or_b64 exec, exec, s[0:1]
	s_and_saveexec_b64 s[0:1], s[26:27]
	s_cbranch_execnz .LBB6_82
.LBB6_61:
	s_or_b64 exec, exec, s[0:1]
	s_and_saveexec_b64 s[0:1], s[28:29]
	s_cbranch_execnz .LBB6_83
.LBB6_62:
	s_or_b64 exec, exec, s[0:1]
	s_and_saveexec_b64 s[0:1], s[30:31]
	s_cbranch_execnz .LBB6_84
.LBB6_63:
	s_or_b64 exec, exec, s[0:1]
	s_and_saveexec_b64 s[0:1], s[34:35]
	s_cbranch_execnz .LBB6_85
.LBB6_64:
	s_or_b64 exec, exec, s[0:1]
	s_and_saveexec_b64 s[0:1], s[36:37]
	s_cbranch_execnz .LBB6_86
.LBB6_65:
	s_or_b64 exec, exec, s[0:1]
	s_and_saveexec_b64 s[0:1], s[38:39]
	s_cbranch_execnz .LBB6_87
.LBB6_66:
	s_or_b64 exec, exec, s[0:1]
	s_and_saveexec_b64 s[0:1], s[40:41]
	s_cbranch_execnz .LBB6_88
.LBB6_67:
	s_or_b64 exec, exec, s[0:1]
	s_and_saveexec_b64 s[0:1], s[42:43]
	s_cbranch_execnz .LBB6_89
.LBB6_68:
	s_or_b64 exec, exec, s[0:1]
	s_and_saveexec_b64 s[0:1], s[44:45]
	s_cbranch_execnz .LBB6_90
.LBB6_69:
	s_endpgm
.LBB6_70:
	ds_read_b32 v2, v2
	s_waitcnt lgkmcnt(0)
	global_store_dword v[4:5], v2, off
	s_or_b64 exec, exec, s[0:1]
	s_and_saveexec_b64 s[0:1], s[2:3]
	s_cbranch_execz .LBB6_50
.LBB6_71:
	s_waitcnt lgkmcnt(9)
	global_store_dword v[4:5], v22, off offset:1024
	s_or_b64 exec, exec, s[0:1]
	s_and_saveexec_b64 s[0:1], s[4:5]
	s_cbranch_execz .LBB6_51
.LBB6_72:
	s_waitcnt lgkmcnt(9)
	global_store_dword v[4:5], v23, off offset:2048
	s_or_b64 exec, exec, s[0:1]
	s_and_saveexec_b64 s[0:1], s[6:7]
	s_cbranch_execz .LBB6_52
.LBB6_73:
	s_waitcnt lgkmcnt(8)
	global_store_dword v[4:5], v20, off offset:3072
	s_or_b64 exec, exec, s[0:1]
	s_and_saveexec_b64 s[0:1], s[8:9]
	s_cbranch_execz .LBB6_53
.LBB6_74:
	v_add_co_u32_e32 v2, vcc, 0x1000, v4
	s_nop 1
	v_addc_co_u32_e32 v3, vcc, 0, v5, vcc
	s_waitcnt lgkmcnt(8)
	global_store_dword v[2:3], v21, off
	s_or_b64 exec, exec, s[0:1]
	s_and_saveexec_b64 s[0:1], s[10:11]
	s_cbranch_execz .LBB6_54
.LBB6_75:
	v_add_co_u32_e32 v2, vcc, 0x1000, v4
	s_nop 1
	v_addc_co_u32_e32 v3, vcc, 0, v5, vcc
	s_waitcnt lgkmcnt(7)
	global_store_dword v[2:3], v18, off offset:1024
	s_or_b64 exec, exec, s[0:1]
	s_and_saveexec_b64 s[0:1], s[12:13]
	s_cbranch_execz .LBB6_55
.LBB6_76:
	v_add_co_u32_e32 v2, vcc, 0x1000, v4
	s_nop 1
	v_addc_co_u32_e32 v3, vcc, 0, v5, vcc
	s_waitcnt lgkmcnt(7)
	global_store_dword v[2:3], v19, off offset:2048
	s_or_b64 exec, exec, s[0:1]
	s_and_saveexec_b64 s[0:1], s[14:15]
	s_cbranch_execz .LBB6_56
.LBB6_77:
	v_add_co_u32_e32 v2, vcc, 0x1000, v4
	s_nop 1
	v_addc_co_u32_e32 v3, vcc, 0, v5, vcc
	s_waitcnt lgkmcnt(6)
	global_store_dword v[2:3], v16, off offset:3072
	s_or_b64 exec, exec, s[0:1]
	s_and_saveexec_b64 s[0:1], s[18:19]
	s_cbranch_execz .LBB6_57
.LBB6_78:
	v_add_co_u32_e32 v2, vcc, 0x2000, v4
	s_nop 1
	v_addc_co_u32_e32 v3, vcc, 0, v5, vcc
	s_waitcnt lgkmcnt(6)
	global_store_dword v[2:3], v17, off
	s_or_b64 exec, exec, s[0:1]
	s_and_saveexec_b64 s[0:1], s[20:21]
	s_cbranch_execz .LBB6_58
.LBB6_79:
	v_add_co_u32_e32 v2, vcc, 0x2000, v4
	s_nop 1
	v_addc_co_u32_e32 v3, vcc, 0, v5, vcc
	s_waitcnt lgkmcnt(5)
	global_store_dword v[2:3], v14, off offset:1024
	s_or_b64 exec, exec, s[0:1]
	s_and_saveexec_b64 s[0:1], s[22:23]
	s_cbranch_execz .LBB6_59
.LBB6_80:
	v_add_co_u32_e32 v2, vcc, 0x2000, v4
	s_nop 1
	v_addc_co_u32_e32 v3, vcc, 0, v5, vcc
	s_waitcnt lgkmcnt(5)
	global_store_dword v[2:3], v15, off offset:2048
	s_or_b64 exec, exec, s[0:1]
	s_and_saveexec_b64 s[0:1], s[24:25]
	s_cbranch_execz .LBB6_60
.LBB6_81:
	v_add_co_u32_e32 v2, vcc, 0x2000, v4
	s_nop 1
	v_addc_co_u32_e32 v3, vcc, 0, v5, vcc
	s_waitcnt lgkmcnt(4)
	global_store_dword v[2:3], v12, off offset:3072
	s_or_b64 exec, exec, s[0:1]
	s_and_saveexec_b64 s[0:1], s[26:27]
	s_cbranch_execz .LBB6_61
.LBB6_82:
	v_add_co_u32_e32 v2, vcc, 0x3000, v4
	s_nop 1
	v_addc_co_u32_e32 v3, vcc, 0, v5, vcc
	s_waitcnt lgkmcnt(4)
	global_store_dword v[2:3], v13, off
	s_or_b64 exec, exec, s[0:1]
	s_and_saveexec_b64 s[0:1], s[28:29]
	s_cbranch_execz .LBB6_62
.LBB6_83:
	v_add_co_u32_e32 v2, vcc, 0x3000, v4
	s_nop 1
	v_addc_co_u32_e32 v3, vcc, 0, v5, vcc
	s_waitcnt lgkmcnt(3)
	global_store_dword v[2:3], v10, off offset:1024
	s_or_b64 exec, exec, s[0:1]
	s_and_saveexec_b64 s[0:1], s[30:31]
	s_cbranch_execz .LBB6_63
.LBB6_84:
	v_add_co_u32_e32 v2, vcc, 0x3000, v4
	s_nop 1
	v_addc_co_u32_e32 v3, vcc, 0, v5, vcc
	s_waitcnt lgkmcnt(3)
	global_store_dword v[2:3], v11, off offset:2048
	s_or_b64 exec, exec, s[0:1]
	s_and_saveexec_b64 s[0:1], s[34:35]
	s_cbranch_execz .LBB6_64
.LBB6_85:
	v_add_co_u32_e32 v2, vcc, 0x3000, v4
	s_nop 1
	v_addc_co_u32_e32 v3, vcc, 0, v5, vcc
	s_waitcnt lgkmcnt(2)
	global_store_dword v[2:3], v8, off offset:3072
	s_or_b64 exec, exec, s[0:1]
	s_and_saveexec_b64 s[0:1], s[36:37]
	s_cbranch_execz .LBB6_65
.LBB6_86:
	v_add_co_u32_e32 v2, vcc, 0x4000, v4
	s_nop 1
	v_addc_co_u32_e32 v3, vcc, 0, v5, vcc
	s_waitcnt lgkmcnt(2)
	global_store_dword v[2:3], v9, off
	s_or_b64 exec, exec, s[0:1]
	s_and_saveexec_b64 s[0:1], s[38:39]
	s_cbranch_execz .LBB6_66
.LBB6_87:
	v_add_co_u32_e32 v2, vcc, 0x4000, v4
	s_nop 1
	v_addc_co_u32_e32 v3, vcc, 0, v5, vcc
	s_waitcnt lgkmcnt(1)
	global_store_dword v[2:3], v6, off offset:1024
	s_or_b64 exec, exec, s[0:1]
	s_and_saveexec_b64 s[0:1], s[40:41]
	s_cbranch_execz .LBB6_67
.LBB6_88:
	v_add_co_u32_e32 v2, vcc, 0x4000, v4
	s_nop 1
	v_addc_co_u32_e32 v3, vcc, 0, v5, vcc
	s_waitcnt lgkmcnt(1)
	global_store_dword v[2:3], v7, off offset:2048
	s_or_b64 exec, exec, s[0:1]
	s_and_saveexec_b64 s[0:1], s[42:43]
	s_cbranch_execz .LBB6_68
.LBB6_89:
	v_add_co_u32_e32 v2, vcc, 0x4000, v4
	s_nop 1
	v_addc_co_u32_e32 v3, vcc, 0, v5, vcc
	s_waitcnt lgkmcnt(0)
	global_store_dword v[2:3], v0, off offset:3072
	s_or_b64 exec, exec, s[0:1]
	s_and_saveexec_b64 s[0:1], s[44:45]
	s_cbranch_execz .LBB6_69
.LBB6_90:
	v_add_co_u32_e32 v2, vcc, 0x5000, v4
	s_nop 1
	v_addc_co_u32_e32 v3, vcc, 0, v5, vcc
	s_waitcnt lgkmcnt(0)
	global_store_dword v[2:3], v1, off
	s_endpgm
	.section	.rodata,"a",@progbits
	.p2align	6, 0x0
	.amdhsa_kernel _ZN7rocprim6detail18single_scan_kernelILb1ENS0_19wrapped_scan_configINS_14default_configEjEEPjS5_N6thrust4plusIvEEjjEEvT1_mT4_T2_T3_
		.amdhsa_group_segment_fixed_size 21504
		.amdhsa_private_segment_fixed_size 0
		.amdhsa_kernarg_size 36
		.amdhsa_user_sgpr_count 2
		.amdhsa_user_sgpr_dispatch_ptr 0
		.amdhsa_user_sgpr_queue_ptr 0
		.amdhsa_user_sgpr_kernarg_segment_ptr 1
		.amdhsa_user_sgpr_dispatch_id 0
		.amdhsa_user_sgpr_kernarg_preload_length 0
		.amdhsa_user_sgpr_kernarg_preload_offset 0
		.amdhsa_user_sgpr_private_segment_size 0
		.amdhsa_uses_dynamic_stack 0
		.amdhsa_enable_private_segment 0
		.amdhsa_system_sgpr_workgroup_id_x 1
		.amdhsa_system_sgpr_workgroup_id_y 0
		.amdhsa_system_sgpr_workgroup_id_z 0
		.amdhsa_system_sgpr_workgroup_info 0
		.amdhsa_system_vgpr_workitem_id 0
		.amdhsa_next_free_vgpr 28
		.amdhsa_next_free_sgpr 48
		.amdhsa_accum_offset 28
		.amdhsa_reserve_vcc 1
		.amdhsa_float_round_mode_32 0
		.amdhsa_float_round_mode_16_64 0
		.amdhsa_float_denorm_mode_32 3
		.amdhsa_float_denorm_mode_16_64 3
		.amdhsa_dx10_clamp 1
		.amdhsa_ieee_mode 1
		.amdhsa_fp16_overflow 0
		.amdhsa_tg_split 0
		.amdhsa_exception_fp_ieee_invalid_op 0
		.amdhsa_exception_fp_denorm_src 0
		.amdhsa_exception_fp_ieee_div_zero 0
		.amdhsa_exception_fp_ieee_overflow 0
		.amdhsa_exception_fp_ieee_underflow 0
		.amdhsa_exception_fp_ieee_inexact 0
		.amdhsa_exception_int_div_zero 0
	.end_amdhsa_kernel
	.section	.text._ZN7rocprim6detail18single_scan_kernelILb1ENS0_19wrapped_scan_configINS_14default_configEjEEPjS5_N6thrust4plusIvEEjjEEvT1_mT4_T2_T3_,"axG",@progbits,_ZN7rocprim6detail18single_scan_kernelILb1ENS0_19wrapped_scan_configINS_14default_configEjEEPjS5_N6thrust4plusIvEEjjEEvT1_mT4_T2_T3_,comdat
.Lfunc_end6:
	.size	_ZN7rocprim6detail18single_scan_kernelILb1ENS0_19wrapped_scan_configINS_14default_configEjEEPjS5_N6thrust4plusIvEEjjEEvT1_mT4_T2_T3_, .Lfunc_end6-_ZN7rocprim6detail18single_scan_kernelILb1ENS0_19wrapped_scan_configINS_14default_configEjEEPjS5_N6thrust4plusIvEEjjEEvT1_mT4_T2_T3_
                                        ; -- End function
	.section	.AMDGPU.csdata,"",@progbits
; Kernel info:
; codeLenInByte = 3200
; NumSgprs: 54
; NumVgprs: 28
; NumAgprs: 0
; TotalNumVgprs: 28
; ScratchSize: 0
; MemoryBound: 0
; FloatMode: 240
; IeeeMode: 1
; LDSByteSize: 21504 bytes/workgroup (compile time only)
; SGPRBlocks: 6
; VGPRBlocks: 3
; NumSGPRsForWavesPerEU: 54
; NumVGPRsForWavesPerEU: 28
; AccumOffset: 28
; Occupancy: 3
; WaveLimiterHint : 0
; COMPUTE_PGM_RSRC2:SCRATCH_EN: 0
; COMPUTE_PGM_RSRC2:USER_SGPR: 2
; COMPUTE_PGM_RSRC2:TRAP_HANDLER: 0
; COMPUTE_PGM_RSRC2:TGID_X_EN: 1
; COMPUTE_PGM_RSRC2:TGID_Y_EN: 0
; COMPUTE_PGM_RSRC2:TGID_Z_EN: 0
; COMPUTE_PGM_RSRC2:TIDIG_COMP_CNT: 0
; COMPUTE_PGM_RSRC3_GFX90A:ACCUM_OFFSET: 6
; COMPUTE_PGM_RSRC3_GFX90A:TG_SPLIT: 0
	.section	.text._Z15fillBlockColEllILi2EEviiPjPKiS2_S2_S2_PKdS0_Pd,"axG",@progbits,_Z15fillBlockColEllILi2EEviiPjPKiS2_S2_S2_PKdS0_Pd,comdat
	.protected	_Z15fillBlockColEllILi2EEviiPjPKiS2_S2_S2_PKdS0_Pd ; -- Begin function _Z15fillBlockColEllILi2EEviiPjPKiS2_S2_S2_PKdS0_Pd
	.globl	_Z15fillBlockColEllILi2EEviiPjPKiS2_S2_S2_PKdS0_Pd
	.p2align	8
	.type	_Z15fillBlockColEllILi2EEviiPjPKiS2_S2_S2_PKdS0_Pd,@function
_Z15fillBlockColEllILi2EEviiPjPKiS2_S2_S2_PKdS0_Pd: ; @_Z15fillBlockColEllILi2EEviiPjPKiS2_S2_S2_PKdS0_Pd
; %bb.0:
	s_load_dword s3, s[0:1], 0x54
	s_load_dwordx2 s[4:5], s[0:1], 0x0
	v_lshrrev_b32_e32 v1, 1, v0
	v_mov_b32_e32 v12, 0
	s_waitcnt lgkmcnt(0)
	s_bfe_u32 s3, s3, 0xf0001
	s_mul_i32 s2, s2, s3
	v_add_u32_e32 v2, s2, v1
	s_add_i32 s2, s5, -1
	v_cmp_gt_i32_e32 vcc, s4, v2
	v_mov_b32_e32 v4, s2
	s_and_saveexec_b64 s[2:3], vcc
	s_cbranch_execz .LBB7_2
; %bb.1:
	s_load_dwordx4 s[4:7], s[0:1], 0x10
	v_ashrrev_i32_e32 v3, 31, v2
	v_lshlrev_b64 v[4:5], 2, v[2:3]
	s_waitcnt lgkmcnt(0)
	v_lshl_add_u64 v[8:9], s[4:5], 0, v[4:5]
	v_lshl_add_u64 v[6:7], s[6:7], 0, v[4:5]
	global_load_dword v4, v[8:9], off
	global_load_dword v12, v[6:7], off
.LBB7_2:
	s_or_b64 exec, exec, s[2:3]
	s_and_saveexec_b64 s[2:3], vcc
	s_cbranch_execz .LBB7_9
; %bb.3:
	s_load_dwordx2 s[2:3], s[0:1], 0x20
	v_and_b32_e32 v0, 1, v0
	v_add_u32_e32 v2, v2, v0
	v_ashrrev_i32_e32 v3, 31, v2
	s_waitcnt vmcnt(1)
	v_ashrrev_i32_e32 v5, 31, v4
	s_waitcnt lgkmcnt(0)
	v_lshl_add_u64 v[2:3], v[2:3], 2, s[2:3]
	global_load_dword v1, v[2:3], off
	s_load_dwordx2 s[2:3], s[0:1], 0x8
	s_load_dwordx4 s[4:7], s[0:1], 0x38
	v_cmp_eq_u32_e32 vcc, 1, v0
	s_waitcnt lgkmcnt(0)
	v_lshl_add_u64 v[2:3], v[4:5], 2, s[2:3]
	global_load_dwordx2 v[2:3], v[2:3], off
	v_mbcnt_lo_u32_b32 v4, -1, 0
	v_mbcnt_hi_u32_b32 v4, -1, v4
	v_lshlrev_b32_e32 v5, 2, v4
	v_and_b32_e32 v4, 0x1f8, v5
	s_waitcnt vmcnt(1)
	v_cndmask_b32_e32 v6, v0, v1, vcc
	v_cmp_eq_u32_e32 vcc, 0, v0
	s_nop 1
	v_cndmask_b32_e32 v1, v0, v1, vcc
	ds_bpermute_b32 v4, v4, v1
	v_or_b32_e32 v1, 4, v5
	ds_bpermute_b32 v13, v1, v6
	s_waitcnt lgkmcnt(1)
	v_add_u32_e32 v14, v4, v0
	s_waitcnt lgkmcnt(0)
	v_cmp_lt_i32_e32 vcc, v14, v13
	s_and_saveexec_b64 s[2:3], vcc
	s_cbranch_execz .LBB7_6
; %bb.4:
	s_load_dwordx4 s[8:11], s[0:1], 0x28
	v_ashrrev_i32_e32 v5, 31, v4
	v_mov_b32_e32 v1, 0
	v_lshl_add_u64 v[8:9], v[4:5], 0, v[0:1]
	s_waitcnt vmcnt(0)
	v_add_u32_e32 v1, v2, v0
	s_waitcnt lgkmcnt(0)
	v_lshl_add_u64 v[6:7], v[8:9], 2, s[8:9]
	v_lshl_add_u64 v[8:9], v[8:9], 3, s[10:11]
	v_lshl_add_u32 v10, v1, 6, v12
	s_mov_b64 s[0:1], 0
.LBB7_5:                                ; =>This Inner Loop Header: Depth=1
	global_load_dword v1, v[6:7], off
	global_load_dwordx2 v[16:17], v[8:9], off
	v_add_u32_e32 v14, 2, v14
	v_ashrrev_i32_e32 v11, 31, v10
	v_cmp_ge_i32_e32 vcc, v14, v13
	v_lshl_add_u64 v[6:7], v[6:7], 0, 8
	v_lshl_add_u64 v[8:9], v[8:9], 0, 16
	;; [unrolled: 1-line block ×4, first 2 shown]
	v_add_u32_e32 v10, 0x80, v10
	s_or_b64 s[0:1], vcc, s[0:1]
	s_waitcnt vmcnt(1)
	global_store_dword v[18:19], v1, off
	s_waitcnt vmcnt(1)
	global_store_dwordx2 v[20:21], v[16:17], off
	s_andn2_b64 exec, exec, s[0:1]
	s_cbranch_execnz .LBB7_5
.LBB7_6:
	s_or_b64 exec, exec, s[2:3]
	v_sub_u32_e32 v1, v0, v4
	s_waitcnt vmcnt(0)
	v_sub_u32_e32 v5, v3, v2
	v_add_u32_e32 v6, v1, v13
	v_cmp_lt_u32_e32 vcc, v6, v5
	s_and_b64 exec, exec, vcc
	s_cbranch_execz .LBB7_9
; %bb.7:
	v_add3_u32 v0, v13, v2, v0
	v_sub_u32_e32 v0, v0, v4
	v_mov_b32_e32 v2, 0
	v_lshl_add_u32 v0, v0, 6, v12
	s_mov_b64 s[0:1], 0
	v_mov_b32_e32 v3, v2
.LBB7_8:                                ; =>This Inner Loop Header: Depth=1
	v_ashrrev_i32_e32 v1, 31, v0
	v_add_u32_e32 v6, 2, v6
	v_lshl_add_u64 v[8:9], v[0:1], 2, s[4:5]
	v_cmp_ge_u32_e32 vcc, v6, v5
	global_store_dword v[8:9], v2, off
	v_lshl_add_u64 v[8:9], v[0:1], 3, s[6:7]
	s_or_b64 s[0:1], vcc, s[0:1]
	v_add_u32_e32 v0, 0x80, v0
	global_store_dwordx2 v[8:9], v[2:3], off
	s_andn2_b64 exec, exec, s[0:1]
	s_cbranch_execnz .LBB7_8
.LBB7_9:
	s_endpgm
	.section	.rodata,"a",@progbits
	.p2align	6, 0x0
	.amdhsa_kernel _Z15fillBlockColEllILi2EEviiPjPKiS2_S2_S2_PKdS0_Pd
		.amdhsa_group_segment_fixed_size 0
		.amdhsa_private_segment_fixed_size 0
		.amdhsa_kernarg_size 328
		.amdhsa_user_sgpr_count 2
		.amdhsa_user_sgpr_dispatch_ptr 0
		.amdhsa_user_sgpr_queue_ptr 0
		.amdhsa_user_sgpr_kernarg_segment_ptr 1
		.amdhsa_user_sgpr_dispatch_id 0
		.amdhsa_user_sgpr_kernarg_preload_length 0
		.amdhsa_user_sgpr_kernarg_preload_offset 0
		.amdhsa_user_sgpr_private_segment_size 0
		.amdhsa_uses_dynamic_stack 0
		.amdhsa_enable_private_segment 0
		.amdhsa_system_sgpr_workgroup_id_x 1
		.amdhsa_system_sgpr_workgroup_id_y 0
		.amdhsa_system_sgpr_workgroup_id_z 0
		.amdhsa_system_sgpr_workgroup_info 0
		.amdhsa_system_vgpr_workitem_id 0
		.amdhsa_next_free_vgpr 22
		.amdhsa_next_free_sgpr 12
		.amdhsa_accum_offset 24
		.amdhsa_reserve_vcc 1
		.amdhsa_float_round_mode_32 0
		.amdhsa_float_round_mode_16_64 0
		.amdhsa_float_denorm_mode_32 3
		.amdhsa_float_denorm_mode_16_64 3
		.amdhsa_dx10_clamp 1
		.amdhsa_ieee_mode 1
		.amdhsa_fp16_overflow 0
		.amdhsa_tg_split 0
		.amdhsa_exception_fp_ieee_invalid_op 0
		.amdhsa_exception_fp_denorm_src 0
		.amdhsa_exception_fp_ieee_div_zero 0
		.amdhsa_exception_fp_ieee_overflow 0
		.amdhsa_exception_fp_ieee_underflow 0
		.amdhsa_exception_fp_ieee_inexact 0
		.amdhsa_exception_int_div_zero 0
	.end_amdhsa_kernel
	.section	.text._Z15fillBlockColEllILi2EEviiPjPKiS2_S2_S2_PKdS0_Pd,"axG",@progbits,_Z15fillBlockColEllILi2EEviiPjPKiS2_S2_S2_PKdS0_Pd,comdat
.Lfunc_end7:
	.size	_Z15fillBlockColEllILi2EEviiPjPKiS2_S2_S2_PKdS0_Pd, .Lfunc_end7-_Z15fillBlockColEllILi2EEviiPjPKiS2_S2_S2_PKdS0_Pd
                                        ; -- End function
	.section	.AMDGPU.csdata,"",@progbits
; Kernel info:
; codeLenInByte = 612
; NumSgprs: 18
; NumVgprs: 22
; NumAgprs: 0
; TotalNumVgprs: 22
; ScratchSize: 0
; MemoryBound: 0
; FloatMode: 240
; IeeeMode: 1
; LDSByteSize: 0 bytes/workgroup (compile time only)
; SGPRBlocks: 2
; VGPRBlocks: 2
; NumSGPRsForWavesPerEU: 18
; NumVGPRsForWavesPerEU: 22
; AccumOffset: 24
; Occupancy: 8
; WaveLimiterHint : 0
; COMPUTE_PGM_RSRC2:SCRATCH_EN: 0
; COMPUTE_PGM_RSRC2:USER_SGPR: 2
; COMPUTE_PGM_RSRC2:TRAP_HANDLER: 0
; COMPUTE_PGM_RSRC2:TGID_X_EN: 1
; COMPUTE_PGM_RSRC2:TGID_Y_EN: 0
; COMPUTE_PGM_RSRC2:TGID_Z_EN: 0
; COMPUTE_PGM_RSRC2:TIDIG_COMP_CNT: 0
; COMPUTE_PGM_RSRC3_GFX90A:ACCUM_OFFSET: 5
; COMPUTE_PGM_RSRC3_GFX90A:TG_SPLIT: 0
	.section	.text._Z15fillBlockColEllILi4EEviiPjPKiS2_S2_S2_PKdS0_Pd,"axG",@progbits,_Z15fillBlockColEllILi4EEviiPjPKiS2_S2_S2_PKdS0_Pd,comdat
	.protected	_Z15fillBlockColEllILi4EEviiPjPKiS2_S2_S2_PKdS0_Pd ; -- Begin function _Z15fillBlockColEllILi4EEviiPjPKiS2_S2_S2_PKdS0_Pd
	.globl	_Z15fillBlockColEllILi4EEviiPjPKiS2_S2_S2_PKdS0_Pd
	.p2align	8
	.type	_Z15fillBlockColEllILi4EEviiPjPKiS2_S2_S2_PKdS0_Pd,@function
_Z15fillBlockColEllILi4EEviiPjPKiS2_S2_S2_PKdS0_Pd: ; @_Z15fillBlockColEllILi4EEviiPjPKiS2_S2_S2_PKdS0_Pd
; %bb.0:
	s_load_dword s3, s[0:1], 0x54
	s_load_dwordx2 s[4:5], s[0:1], 0x0
	v_lshrrev_b32_e32 v1, 2, v0
	v_mov_b32_e32 v12, 0
	s_waitcnt lgkmcnt(0)
	s_bfe_u32 s3, s3, 0xe0002
	s_mul_i32 s2, s2, s3
	v_add_u32_e32 v4, s2, v1
	s_add_i32 s2, s5, -1
	v_cmp_gt_i32_e32 vcc, s4, v4
	v_mov_b32_e32 v2, s2
	s_and_saveexec_b64 s[2:3], vcc
	s_cbranch_execz .LBB8_2
; %bb.1:
	s_load_dwordx4 s[4:7], s[0:1], 0x10
	v_ashrrev_i32_e32 v5, 31, v4
	v_lshlrev_b64 v[2:3], 2, v[4:5]
	s_waitcnt lgkmcnt(0)
	v_lshl_add_u64 v[8:9], s[4:5], 0, v[2:3]
	v_lshl_add_u64 v[6:7], s[6:7], 0, v[2:3]
	global_load_dword v2, v[8:9], off
	global_load_dword v12, v[6:7], off
.LBB8_2:
	s_or_b64 exec, exec, s[2:3]
	s_and_saveexec_b64 s[2:3], vcc
	s_cbranch_execz .LBB8_11
; %bb.3:
	s_load_dwordx2 s[2:3], s[0:1], 0x8
	s_load_dwordx4 s[4:7], s[0:1], 0x38
	s_waitcnt vmcnt(1)
	v_ashrrev_i32_e32 v3, 31, v2
	v_and_b32_e32 v0, 3, v0
	v_cmp_gt_u32_e32 vcc, 2, v0
	s_waitcnt lgkmcnt(0)
	v_lshl_add_u64 v[2:3], v[2:3], 2, s[2:3]
	global_load_dwordx2 v[2:3], v[2:3], off
                                        ; implicit-def: $vgpr1
	s_and_saveexec_b64 s[2:3], vcc
	s_cbranch_execz .LBB8_5
; %bb.4:
	s_load_dwordx2 s[8:9], s[0:1], 0x20
	v_add_u32_e32 v4, v4, v0
	v_ashrrev_i32_e32 v5, 31, v4
	s_waitcnt lgkmcnt(0)
	v_lshl_add_u64 v[4:5], v[4:5], 2, s[8:9]
	global_load_dword v1, v[4:5], off
.LBB8_5:
	s_or_b64 exec, exec, s[2:3]
	v_mbcnt_lo_u32_b32 v4, -1, 0
	v_mbcnt_hi_u32_b32 v4, -1, v4
	v_lshlrev_b32_e32 v4, 2, v4
	v_and_b32_e32 v5, 0x1f0, v4
	s_waitcnt vmcnt(0)
	ds_bpermute_b32 v4, v5, v1
	ds_bpermute_b32 v13, v5, v1 offset:4
	s_waitcnt lgkmcnt(1)
	v_add_u32_e32 v14, v4, v0
	s_waitcnt lgkmcnt(0)
	v_cmp_lt_i32_e32 vcc, v14, v13
	s_and_saveexec_b64 s[2:3], vcc
	s_cbranch_execz .LBB8_8
; %bb.6:
	s_load_dwordx4 s[8:11], s[0:1], 0x28
	v_ashrrev_i32_e32 v5, 31, v4
	v_mov_b32_e32 v1, 0
	v_lshl_add_u64 v[8:9], v[4:5], 0, v[0:1]
	v_add_u32_e32 v1, v2, v0
	s_waitcnt lgkmcnt(0)
	v_lshl_add_u64 v[6:7], v[8:9], 2, s[8:9]
	v_lshl_add_u64 v[8:9], v[8:9], 3, s[10:11]
	v_lshl_add_u32 v10, v1, 6, v12
	s_mov_b64 s[0:1], 0
.LBB8_7:                                ; =>This Inner Loop Header: Depth=1
	global_load_dword v1, v[6:7], off
	global_load_dwordx2 v[16:17], v[8:9], off
	v_add_u32_e32 v14, 4, v14
	v_ashrrev_i32_e32 v11, 31, v10
	v_cmp_ge_i32_e32 vcc, v14, v13
	v_lshl_add_u64 v[6:7], v[6:7], 0, 16
	v_lshl_add_u64 v[8:9], v[8:9], 0, 32
	;; [unrolled: 1-line block ×4, first 2 shown]
	v_add_u32_e32 v10, 0x100, v10
	s_or_b64 s[0:1], vcc, s[0:1]
	s_waitcnt vmcnt(1)
	global_store_dword v[18:19], v1, off
	s_waitcnt vmcnt(1)
	global_store_dwordx2 v[20:21], v[16:17], off
	s_andn2_b64 exec, exec, s[0:1]
	s_cbranch_execnz .LBB8_7
.LBB8_8:
	s_or_b64 exec, exec, s[2:3]
	v_sub_u32_e32 v1, v0, v4
	v_sub_u32_e32 v5, v3, v2
	v_add_u32_e32 v6, v1, v13
	v_cmp_lt_u32_e32 vcc, v6, v5
	s_and_b64 exec, exec, vcc
	s_cbranch_execz .LBB8_11
; %bb.9:
	v_add3_u32 v0, v13, v2, v0
	v_sub_u32_e32 v0, v0, v4
	v_mov_b32_e32 v2, 0
	v_lshl_add_u32 v0, v0, 6, v12
	s_mov_b64 s[0:1], 0
	v_mov_b32_e32 v3, v2
.LBB8_10:                               ; =>This Inner Loop Header: Depth=1
	v_ashrrev_i32_e32 v1, 31, v0
	v_add_u32_e32 v6, 4, v6
	v_lshl_add_u64 v[8:9], v[0:1], 2, s[4:5]
	v_cmp_ge_u32_e32 vcc, v6, v5
	global_store_dword v[8:9], v2, off
	v_lshl_add_u64 v[8:9], v[0:1], 3, s[6:7]
	s_or_b64 s[0:1], vcc, s[0:1]
	v_add_u32_e32 v0, 0x100, v0
	global_store_dwordx2 v[8:9], v[2:3], off
	s_andn2_b64 exec, exec, s[0:1]
	s_cbranch_execnz .LBB8_10
.LBB8_11:
	s_endpgm
	.section	.rodata,"a",@progbits
	.p2align	6, 0x0
	.amdhsa_kernel _Z15fillBlockColEllILi4EEviiPjPKiS2_S2_S2_PKdS0_Pd
		.amdhsa_group_segment_fixed_size 0
		.amdhsa_private_segment_fixed_size 0
		.amdhsa_kernarg_size 328
		.amdhsa_user_sgpr_count 2
		.amdhsa_user_sgpr_dispatch_ptr 0
		.amdhsa_user_sgpr_queue_ptr 0
		.amdhsa_user_sgpr_kernarg_segment_ptr 1
		.amdhsa_user_sgpr_dispatch_id 0
		.amdhsa_user_sgpr_kernarg_preload_length 0
		.amdhsa_user_sgpr_kernarg_preload_offset 0
		.amdhsa_user_sgpr_private_segment_size 0
		.amdhsa_uses_dynamic_stack 0
		.amdhsa_enable_private_segment 0
		.amdhsa_system_sgpr_workgroup_id_x 1
		.amdhsa_system_sgpr_workgroup_id_y 0
		.amdhsa_system_sgpr_workgroup_id_z 0
		.amdhsa_system_sgpr_workgroup_info 0
		.amdhsa_system_vgpr_workitem_id 0
		.amdhsa_next_free_vgpr 22
		.amdhsa_next_free_sgpr 12
		.amdhsa_accum_offset 24
		.amdhsa_reserve_vcc 1
		.amdhsa_float_round_mode_32 0
		.amdhsa_float_round_mode_16_64 0
		.amdhsa_float_denorm_mode_32 3
		.amdhsa_float_denorm_mode_16_64 3
		.amdhsa_dx10_clamp 1
		.amdhsa_ieee_mode 1
		.amdhsa_fp16_overflow 0
		.amdhsa_tg_split 0
		.amdhsa_exception_fp_ieee_invalid_op 0
		.amdhsa_exception_fp_denorm_src 0
		.amdhsa_exception_fp_ieee_div_zero 0
		.amdhsa_exception_fp_ieee_overflow 0
		.amdhsa_exception_fp_ieee_underflow 0
		.amdhsa_exception_fp_ieee_inexact 0
		.amdhsa_exception_int_div_zero 0
	.end_amdhsa_kernel
	.section	.text._Z15fillBlockColEllILi4EEviiPjPKiS2_S2_S2_PKdS0_Pd,"axG",@progbits,_Z15fillBlockColEllILi4EEviiPjPKiS2_S2_S2_PKdS0_Pd,comdat
.Lfunc_end8:
	.size	_Z15fillBlockColEllILi4EEviiPjPKiS2_S2_S2_PKdS0_Pd, .Lfunc_end8-_Z15fillBlockColEllILi4EEviiPjPKiS2_S2_S2_PKdS0_Pd
                                        ; -- End function
	.section	.AMDGPU.csdata,"",@progbits
; Kernel info:
; codeLenInByte = 596
; NumSgprs: 18
; NumVgprs: 22
; NumAgprs: 0
; TotalNumVgprs: 22
; ScratchSize: 0
; MemoryBound: 0
; FloatMode: 240
; IeeeMode: 1
; LDSByteSize: 0 bytes/workgroup (compile time only)
; SGPRBlocks: 2
; VGPRBlocks: 2
; NumSGPRsForWavesPerEU: 18
; NumVGPRsForWavesPerEU: 22
; AccumOffset: 24
; Occupancy: 8
; WaveLimiterHint : 0
; COMPUTE_PGM_RSRC2:SCRATCH_EN: 0
; COMPUTE_PGM_RSRC2:USER_SGPR: 2
; COMPUTE_PGM_RSRC2:TRAP_HANDLER: 0
; COMPUTE_PGM_RSRC2:TGID_X_EN: 1
; COMPUTE_PGM_RSRC2:TGID_Y_EN: 0
; COMPUTE_PGM_RSRC2:TGID_Z_EN: 0
; COMPUTE_PGM_RSRC2:TIDIG_COMP_CNT: 0
; COMPUTE_PGM_RSRC3_GFX90A:ACCUM_OFFSET: 5
; COMPUTE_PGM_RSRC3_GFX90A:TG_SPLIT: 0
	.section	.text._Z15fillBlockColEllILi8EEviiPjPKiS2_S2_S2_PKdS0_Pd,"axG",@progbits,_Z15fillBlockColEllILi8EEviiPjPKiS2_S2_S2_PKdS0_Pd,comdat
	.protected	_Z15fillBlockColEllILi8EEviiPjPKiS2_S2_S2_PKdS0_Pd ; -- Begin function _Z15fillBlockColEllILi8EEviiPjPKiS2_S2_S2_PKdS0_Pd
	.globl	_Z15fillBlockColEllILi8EEviiPjPKiS2_S2_S2_PKdS0_Pd
	.p2align	8
	.type	_Z15fillBlockColEllILi8EEviiPjPKiS2_S2_S2_PKdS0_Pd,@function
_Z15fillBlockColEllILi8EEviiPjPKiS2_S2_S2_PKdS0_Pd: ; @_Z15fillBlockColEllILi8EEviiPjPKiS2_S2_S2_PKdS0_Pd
; %bb.0:
	s_load_dword s3, s[0:1], 0x54
	s_load_dwordx2 s[4:5], s[0:1], 0x0
	v_lshrrev_b32_e32 v1, 3, v0
	v_mov_b32_e32 v12, 0
	s_waitcnt lgkmcnt(0)
	s_bfe_u32 s3, s3, 0xd0003
	s_mul_i32 s2, s2, s3
	v_add_u32_e32 v4, s2, v1
	s_add_i32 s2, s5, -1
	v_cmp_gt_i32_e32 vcc, s4, v4
	v_mov_b32_e32 v2, s2
	s_and_saveexec_b64 s[2:3], vcc
	s_cbranch_execz .LBB9_2
; %bb.1:
	s_load_dwordx4 s[4:7], s[0:1], 0x10
	v_ashrrev_i32_e32 v5, 31, v4
	v_lshlrev_b64 v[2:3], 2, v[4:5]
	s_waitcnt lgkmcnt(0)
	v_lshl_add_u64 v[8:9], s[4:5], 0, v[2:3]
	v_lshl_add_u64 v[6:7], s[6:7], 0, v[2:3]
	global_load_dword v2, v[8:9], off
	global_load_dword v12, v[6:7], off
.LBB9_2:
	s_or_b64 exec, exec, s[2:3]
	s_and_saveexec_b64 s[2:3], vcc
	s_cbranch_execz .LBB9_11
; %bb.3:
	s_load_dwordx2 s[2:3], s[0:1], 0x8
	s_load_dwordx4 s[4:7], s[0:1], 0x38
	s_waitcnt vmcnt(1)
	v_ashrrev_i32_e32 v3, 31, v2
	v_and_b32_e32 v0, 7, v0
	v_cmp_gt_u32_e32 vcc, 2, v0
	s_waitcnt lgkmcnt(0)
	v_lshl_add_u64 v[2:3], v[2:3], 2, s[2:3]
	global_load_dwordx2 v[2:3], v[2:3], off
                                        ; implicit-def: $vgpr1
	s_and_saveexec_b64 s[2:3], vcc
	s_cbranch_execz .LBB9_5
; %bb.4:
	s_load_dwordx2 s[8:9], s[0:1], 0x20
	v_add_u32_e32 v4, v4, v0
	v_ashrrev_i32_e32 v5, 31, v4
	s_waitcnt lgkmcnt(0)
	v_lshl_add_u64 v[4:5], v[4:5], 2, s[8:9]
	global_load_dword v1, v[4:5], off
.LBB9_5:
	s_or_b64 exec, exec, s[2:3]
	v_mbcnt_lo_u32_b32 v4, -1, 0
	v_mbcnt_hi_u32_b32 v4, -1, v4
	v_lshlrev_b32_e32 v4, 2, v4
	v_and_b32_e32 v5, 0x1e0, v4
	s_waitcnt vmcnt(0)
	ds_bpermute_b32 v4, v5, v1
	ds_bpermute_b32 v13, v5, v1 offset:4
	s_waitcnt lgkmcnt(1)
	v_add_u32_e32 v14, v4, v0
	s_waitcnt lgkmcnt(0)
	v_cmp_lt_i32_e32 vcc, v14, v13
	s_and_saveexec_b64 s[2:3], vcc
	s_cbranch_execz .LBB9_8
; %bb.6:
	s_load_dwordx4 s[8:11], s[0:1], 0x28
	v_ashrrev_i32_e32 v5, 31, v4
	v_mov_b32_e32 v1, 0
	v_lshl_add_u64 v[8:9], v[4:5], 0, v[0:1]
	v_add_u32_e32 v1, v2, v0
	s_waitcnt lgkmcnt(0)
	v_lshl_add_u64 v[6:7], v[8:9], 2, s[8:9]
	v_lshl_add_u64 v[8:9], v[8:9], 3, s[10:11]
	v_lshl_add_u32 v10, v1, 6, v12
	s_mov_b64 s[0:1], 0
.LBB9_7:                                ; =>This Inner Loop Header: Depth=1
	global_load_dword v1, v[6:7], off
	global_load_dwordx2 v[16:17], v[8:9], off
	v_add_u32_e32 v14, 8, v14
	v_ashrrev_i32_e32 v11, 31, v10
	v_cmp_ge_i32_e32 vcc, v14, v13
	v_lshl_add_u64 v[6:7], v[6:7], 0, 32
	v_lshl_add_u64 v[8:9], v[8:9], 0, 64
	;; [unrolled: 1-line block ×4, first 2 shown]
	v_add_u32_e32 v10, 0x200, v10
	s_or_b64 s[0:1], vcc, s[0:1]
	s_waitcnt vmcnt(1)
	global_store_dword v[18:19], v1, off
	s_waitcnt vmcnt(1)
	global_store_dwordx2 v[20:21], v[16:17], off
	s_andn2_b64 exec, exec, s[0:1]
	s_cbranch_execnz .LBB9_7
.LBB9_8:
	s_or_b64 exec, exec, s[2:3]
	v_sub_u32_e32 v1, v0, v4
	v_sub_u32_e32 v5, v3, v2
	v_add_u32_e32 v6, v1, v13
	v_cmp_lt_u32_e32 vcc, v6, v5
	s_and_b64 exec, exec, vcc
	s_cbranch_execz .LBB9_11
; %bb.9:
	v_add3_u32 v0, v13, v2, v0
	v_sub_u32_e32 v0, v0, v4
	v_mov_b32_e32 v2, 0
	v_lshl_add_u32 v0, v0, 6, v12
	s_mov_b64 s[0:1], 0
	v_mov_b32_e32 v3, v2
.LBB9_10:                               ; =>This Inner Loop Header: Depth=1
	v_ashrrev_i32_e32 v1, 31, v0
	v_add_u32_e32 v6, 8, v6
	v_lshl_add_u64 v[8:9], v[0:1], 2, s[4:5]
	v_cmp_ge_u32_e32 vcc, v6, v5
	global_store_dword v[8:9], v2, off
	v_lshl_add_u64 v[8:9], v[0:1], 3, s[6:7]
	s_or_b64 s[0:1], vcc, s[0:1]
	v_add_u32_e32 v0, 0x200, v0
	global_store_dwordx2 v[8:9], v[2:3], off
	s_andn2_b64 exec, exec, s[0:1]
	s_cbranch_execnz .LBB9_10
.LBB9_11:
	s_endpgm
	.section	.rodata,"a",@progbits
	.p2align	6, 0x0
	.amdhsa_kernel _Z15fillBlockColEllILi8EEviiPjPKiS2_S2_S2_PKdS0_Pd
		.amdhsa_group_segment_fixed_size 0
		.amdhsa_private_segment_fixed_size 0
		.amdhsa_kernarg_size 328
		.amdhsa_user_sgpr_count 2
		.amdhsa_user_sgpr_dispatch_ptr 0
		.amdhsa_user_sgpr_queue_ptr 0
		.amdhsa_user_sgpr_kernarg_segment_ptr 1
		.amdhsa_user_sgpr_dispatch_id 0
		.amdhsa_user_sgpr_kernarg_preload_length 0
		.amdhsa_user_sgpr_kernarg_preload_offset 0
		.amdhsa_user_sgpr_private_segment_size 0
		.amdhsa_uses_dynamic_stack 0
		.amdhsa_enable_private_segment 0
		.amdhsa_system_sgpr_workgroup_id_x 1
		.amdhsa_system_sgpr_workgroup_id_y 0
		.amdhsa_system_sgpr_workgroup_id_z 0
		.amdhsa_system_sgpr_workgroup_info 0
		.amdhsa_system_vgpr_workitem_id 0
		.amdhsa_next_free_vgpr 22
		.amdhsa_next_free_sgpr 12
		.amdhsa_accum_offset 24
		.amdhsa_reserve_vcc 1
		.amdhsa_float_round_mode_32 0
		.amdhsa_float_round_mode_16_64 0
		.amdhsa_float_denorm_mode_32 3
		.amdhsa_float_denorm_mode_16_64 3
		.amdhsa_dx10_clamp 1
		.amdhsa_ieee_mode 1
		.amdhsa_fp16_overflow 0
		.amdhsa_tg_split 0
		.amdhsa_exception_fp_ieee_invalid_op 0
		.amdhsa_exception_fp_denorm_src 0
		.amdhsa_exception_fp_ieee_div_zero 0
		.amdhsa_exception_fp_ieee_overflow 0
		.amdhsa_exception_fp_ieee_underflow 0
		.amdhsa_exception_fp_ieee_inexact 0
		.amdhsa_exception_int_div_zero 0
	.end_amdhsa_kernel
	.section	.text._Z15fillBlockColEllILi8EEviiPjPKiS2_S2_S2_PKdS0_Pd,"axG",@progbits,_Z15fillBlockColEllILi8EEviiPjPKiS2_S2_S2_PKdS0_Pd,comdat
.Lfunc_end9:
	.size	_Z15fillBlockColEllILi8EEviiPjPKiS2_S2_S2_PKdS0_Pd, .Lfunc_end9-_Z15fillBlockColEllILi8EEviiPjPKiS2_S2_S2_PKdS0_Pd
                                        ; -- End function
	.section	.AMDGPU.csdata,"",@progbits
; Kernel info:
; codeLenInByte = 596
; NumSgprs: 18
; NumVgprs: 22
; NumAgprs: 0
; TotalNumVgprs: 22
; ScratchSize: 0
; MemoryBound: 0
; FloatMode: 240
; IeeeMode: 1
; LDSByteSize: 0 bytes/workgroup (compile time only)
; SGPRBlocks: 2
; VGPRBlocks: 2
; NumSGPRsForWavesPerEU: 18
; NumVGPRsForWavesPerEU: 22
; AccumOffset: 24
; Occupancy: 8
; WaveLimiterHint : 0
; COMPUTE_PGM_RSRC2:SCRATCH_EN: 0
; COMPUTE_PGM_RSRC2:USER_SGPR: 2
; COMPUTE_PGM_RSRC2:TRAP_HANDLER: 0
; COMPUTE_PGM_RSRC2:TGID_X_EN: 1
; COMPUTE_PGM_RSRC2:TGID_Y_EN: 0
; COMPUTE_PGM_RSRC2:TGID_Z_EN: 0
; COMPUTE_PGM_RSRC2:TIDIG_COMP_CNT: 0
; COMPUTE_PGM_RSRC3_GFX90A:ACCUM_OFFSET: 5
; COMPUTE_PGM_RSRC3_GFX90A:TG_SPLIT: 0
	.section	.text._Z15fillBlockColEllILi16EEviiPjPKiS2_S2_S2_PKdS0_Pd,"axG",@progbits,_Z15fillBlockColEllILi16EEviiPjPKiS2_S2_S2_PKdS0_Pd,comdat
	.protected	_Z15fillBlockColEllILi16EEviiPjPKiS2_S2_S2_PKdS0_Pd ; -- Begin function _Z15fillBlockColEllILi16EEviiPjPKiS2_S2_S2_PKdS0_Pd
	.globl	_Z15fillBlockColEllILi16EEviiPjPKiS2_S2_S2_PKdS0_Pd
	.p2align	8
	.type	_Z15fillBlockColEllILi16EEviiPjPKiS2_S2_S2_PKdS0_Pd,@function
_Z15fillBlockColEllILi16EEviiPjPKiS2_S2_S2_PKdS0_Pd: ; @_Z15fillBlockColEllILi16EEviiPjPKiS2_S2_S2_PKdS0_Pd
; %bb.0:
	s_load_dword s3, s[0:1], 0x54
	s_load_dwordx2 s[4:5], s[0:1], 0x0
	v_lshrrev_b32_e32 v1, 4, v0
	v_mov_b32_e32 v12, 0
	s_waitcnt lgkmcnt(0)
	s_bfe_u32 s3, s3, 0xc0004
	s_mul_i32 s2, s2, s3
	v_add_u32_e32 v4, s2, v1
	s_add_i32 s2, s5, -1
	v_cmp_gt_i32_e32 vcc, s4, v4
	v_mov_b32_e32 v2, s2
	s_and_saveexec_b64 s[2:3], vcc
	s_cbranch_execz .LBB10_2
; %bb.1:
	s_load_dwordx4 s[4:7], s[0:1], 0x10
	v_ashrrev_i32_e32 v5, 31, v4
	v_lshlrev_b64 v[2:3], 2, v[4:5]
	s_waitcnt lgkmcnt(0)
	v_lshl_add_u64 v[8:9], s[4:5], 0, v[2:3]
	v_lshl_add_u64 v[6:7], s[6:7], 0, v[2:3]
	global_load_dword v2, v[8:9], off
	global_load_dword v12, v[6:7], off
.LBB10_2:
	s_or_b64 exec, exec, s[2:3]
	s_and_saveexec_b64 s[2:3], vcc
	s_cbranch_execz .LBB10_11
; %bb.3:
	s_load_dwordx2 s[2:3], s[0:1], 0x8
	s_load_dwordx4 s[4:7], s[0:1], 0x38
	s_waitcnt vmcnt(1)
	v_ashrrev_i32_e32 v3, 31, v2
	v_and_b32_e32 v0, 15, v0
	v_cmp_gt_u32_e32 vcc, 2, v0
	s_waitcnt lgkmcnt(0)
	v_lshl_add_u64 v[2:3], v[2:3], 2, s[2:3]
	global_load_dwordx2 v[2:3], v[2:3], off
                                        ; implicit-def: $vgpr1
	s_and_saveexec_b64 s[2:3], vcc
	s_cbranch_execz .LBB10_5
; %bb.4:
	s_load_dwordx2 s[8:9], s[0:1], 0x20
	v_add_u32_e32 v4, v4, v0
	v_ashrrev_i32_e32 v5, 31, v4
	s_waitcnt lgkmcnt(0)
	v_lshl_add_u64 v[4:5], v[4:5], 2, s[8:9]
	global_load_dword v1, v[4:5], off
.LBB10_5:
	s_or_b64 exec, exec, s[2:3]
	v_mbcnt_lo_u32_b32 v4, -1, 0
	v_mbcnt_hi_u32_b32 v4, -1, v4
	v_lshlrev_b32_e32 v4, 2, v4
	v_and_b32_e32 v5, 0x1c0, v4
	s_waitcnt vmcnt(0)
	ds_bpermute_b32 v4, v5, v1
	ds_bpermute_b32 v13, v5, v1 offset:4
	s_waitcnt lgkmcnt(1)
	v_add_u32_e32 v14, v4, v0
	s_waitcnt lgkmcnt(0)
	v_cmp_lt_i32_e32 vcc, v14, v13
	s_and_saveexec_b64 s[2:3], vcc
	s_cbranch_execz .LBB10_8
; %bb.6:
	s_load_dwordx4 s[8:11], s[0:1], 0x28
	v_ashrrev_i32_e32 v5, 31, v4
	v_mov_b32_e32 v1, 0
	v_lshl_add_u64 v[8:9], v[4:5], 0, v[0:1]
	v_add_u32_e32 v1, v2, v0
	s_waitcnt lgkmcnt(0)
	v_lshl_add_u64 v[6:7], v[8:9], 2, s[8:9]
	v_lshl_add_u64 v[8:9], v[8:9], 3, s[10:11]
	v_lshl_add_u32 v10, v1, 6, v12
	s_mov_b64 s[0:1], 0
	s_mov_b64 s[8:9], 0x80
.LBB10_7:                               ; =>This Inner Loop Header: Depth=1
	global_load_dword v1, v[6:7], off
	global_load_dwordx2 v[16:17], v[8:9], off
	v_add_u32_e32 v14, 16, v14
	v_ashrrev_i32_e32 v11, 31, v10
	v_cmp_ge_i32_e32 vcc, v14, v13
	v_lshl_add_u64 v[6:7], v[6:7], 0, 64
	v_lshl_add_u64 v[8:9], v[8:9], 0, s[8:9]
	v_lshl_add_u64 v[18:19], v[10:11], 2, s[4:5]
	v_lshl_add_u64 v[20:21], v[10:11], 3, s[6:7]
	v_add_u32_e32 v10, 0x400, v10
	s_or_b64 s[0:1], vcc, s[0:1]
	s_waitcnt vmcnt(1)
	global_store_dword v[18:19], v1, off
	s_waitcnt vmcnt(1)
	global_store_dwordx2 v[20:21], v[16:17], off
	s_andn2_b64 exec, exec, s[0:1]
	s_cbranch_execnz .LBB10_7
.LBB10_8:
	s_or_b64 exec, exec, s[2:3]
	v_sub_u32_e32 v1, v0, v4
	v_sub_u32_e32 v5, v3, v2
	v_add_u32_e32 v6, v1, v13
	v_cmp_lt_u32_e32 vcc, v6, v5
	s_and_b64 exec, exec, vcc
	s_cbranch_execz .LBB10_11
; %bb.9:
	v_add3_u32 v0, v13, v2, v0
	v_sub_u32_e32 v0, v0, v4
	v_mov_b32_e32 v2, 0
	v_lshl_add_u32 v0, v0, 6, v12
	s_mov_b64 s[0:1], 0
	v_mov_b32_e32 v3, v2
.LBB10_10:                              ; =>This Inner Loop Header: Depth=1
	v_ashrrev_i32_e32 v1, 31, v0
	v_add_u32_e32 v6, 16, v6
	v_lshl_add_u64 v[8:9], v[0:1], 2, s[4:5]
	v_cmp_ge_u32_e32 vcc, v6, v5
	global_store_dword v[8:9], v2, off
	v_lshl_add_u64 v[8:9], v[0:1], 3, s[6:7]
	s_or_b64 s[0:1], vcc, s[0:1]
	v_add_u32_e32 v0, 0x400, v0
	global_store_dwordx2 v[8:9], v[2:3], off
	s_andn2_b64 exec, exec, s[0:1]
	s_cbranch_execnz .LBB10_10
.LBB10_11:
	s_endpgm
	.section	.rodata,"a",@progbits
	.p2align	6, 0x0
	.amdhsa_kernel _Z15fillBlockColEllILi16EEviiPjPKiS2_S2_S2_PKdS0_Pd
		.amdhsa_group_segment_fixed_size 0
		.amdhsa_private_segment_fixed_size 0
		.amdhsa_kernarg_size 328
		.amdhsa_user_sgpr_count 2
		.amdhsa_user_sgpr_dispatch_ptr 0
		.amdhsa_user_sgpr_queue_ptr 0
		.amdhsa_user_sgpr_kernarg_segment_ptr 1
		.amdhsa_user_sgpr_dispatch_id 0
		.amdhsa_user_sgpr_kernarg_preload_length 0
		.amdhsa_user_sgpr_kernarg_preload_offset 0
		.amdhsa_user_sgpr_private_segment_size 0
		.amdhsa_uses_dynamic_stack 0
		.amdhsa_enable_private_segment 0
		.amdhsa_system_sgpr_workgroup_id_x 1
		.amdhsa_system_sgpr_workgroup_id_y 0
		.amdhsa_system_sgpr_workgroup_id_z 0
		.amdhsa_system_sgpr_workgroup_info 0
		.amdhsa_system_vgpr_workitem_id 0
		.amdhsa_next_free_vgpr 22
		.amdhsa_next_free_sgpr 12
		.amdhsa_accum_offset 24
		.amdhsa_reserve_vcc 1
		.amdhsa_float_round_mode_32 0
		.amdhsa_float_round_mode_16_64 0
		.amdhsa_float_denorm_mode_32 3
		.amdhsa_float_denorm_mode_16_64 3
		.amdhsa_dx10_clamp 1
		.amdhsa_ieee_mode 1
		.amdhsa_fp16_overflow 0
		.amdhsa_tg_split 0
		.amdhsa_exception_fp_ieee_invalid_op 0
		.amdhsa_exception_fp_denorm_src 0
		.amdhsa_exception_fp_ieee_div_zero 0
		.amdhsa_exception_fp_ieee_overflow 0
		.amdhsa_exception_fp_ieee_underflow 0
		.amdhsa_exception_fp_ieee_inexact 0
		.amdhsa_exception_int_div_zero 0
	.end_amdhsa_kernel
	.section	.text._Z15fillBlockColEllILi16EEviiPjPKiS2_S2_S2_PKdS0_Pd,"axG",@progbits,_Z15fillBlockColEllILi16EEviiPjPKiS2_S2_S2_PKdS0_Pd,comdat
.Lfunc_end10:
	.size	_Z15fillBlockColEllILi16EEviiPjPKiS2_S2_S2_PKdS0_Pd, .Lfunc_end10-_Z15fillBlockColEllILi16EEviiPjPKiS2_S2_S2_PKdS0_Pd
                                        ; -- End function
	.section	.AMDGPU.csdata,"",@progbits
; Kernel info:
; codeLenInByte = 604
; NumSgprs: 18
; NumVgprs: 22
; NumAgprs: 0
; TotalNumVgprs: 22
; ScratchSize: 0
; MemoryBound: 0
; FloatMode: 240
; IeeeMode: 1
; LDSByteSize: 0 bytes/workgroup (compile time only)
; SGPRBlocks: 2
; VGPRBlocks: 2
; NumSGPRsForWavesPerEU: 18
; NumVGPRsForWavesPerEU: 22
; AccumOffset: 24
; Occupancy: 8
; WaveLimiterHint : 0
; COMPUTE_PGM_RSRC2:SCRATCH_EN: 0
; COMPUTE_PGM_RSRC2:USER_SGPR: 2
; COMPUTE_PGM_RSRC2:TRAP_HANDLER: 0
; COMPUTE_PGM_RSRC2:TGID_X_EN: 1
; COMPUTE_PGM_RSRC2:TGID_Y_EN: 0
; COMPUTE_PGM_RSRC2:TGID_Z_EN: 0
; COMPUTE_PGM_RSRC2:TIDIG_COMP_CNT: 0
; COMPUTE_PGM_RSRC3_GFX90A:ACCUM_OFFSET: 5
; COMPUTE_PGM_RSRC3_GFX90A:TG_SPLIT: 0
	.section	.text._Z15fillBlockColEllILi32EEviiPjPKiS2_S2_S2_PKdS0_Pd,"axG",@progbits,_Z15fillBlockColEllILi32EEviiPjPKiS2_S2_S2_PKdS0_Pd,comdat
	.protected	_Z15fillBlockColEllILi32EEviiPjPKiS2_S2_S2_PKdS0_Pd ; -- Begin function _Z15fillBlockColEllILi32EEviiPjPKiS2_S2_S2_PKdS0_Pd
	.globl	_Z15fillBlockColEllILi32EEviiPjPKiS2_S2_S2_PKdS0_Pd
	.p2align	8
	.type	_Z15fillBlockColEllILi32EEviiPjPKiS2_S2_S2_PKdS0_Pd,@function
_Z15fillBlockColEllILi32EEviiPjPKiS2_S2_S2_PKdS0_Pd: ; @_Z15fillBlockColEllILi32EEviiPjPKiS2_S2_S2_PKdS0_Pd
; %bb.0:
	s_load_dword s3, s[0:1], 0x54
	s_load_dwordx2 s[4:5], s[0:1], 0x0
	v_lshrrev_b32_e32 v1, 5, v0
	v_mov_b32_e32 v12, 0
	s_waitcnt lgkmcnt(0)
	s_bfe_u32 s3, s3, 0xb0005
	s_mul_i32 s2, s2, s3
	v_add_u32_e32 v4, s2, v1
	s_add_i32 s2, s5, -1
	v_cmp_gt_i32_e32 vcc, s4, v4
	v_mov_b32_e32 v2, s2
	s_and_saveexec_b64 s[2:3], vcc
	s_cbranch_execz .LBB11_2
; %bb.1:
	s_load_dwordx4 s[4:7], s[0:1], 0x10
	v_ashrrev_i32_e32 v5, 31, v4
	v_lshlrev_b64 v[2:3], 2, v[4:5]
	s_waitcnt lgkmcnt(0)
	v_lshl_add_u64 v[8:9], s[4:5], 0, v[2:3]
	v_lshl_add_u64 v[6:7], s[6:7], 0, v[2:3]
	global_load_dword v2, v[8:9], off
	global_load_dword v12, v[6:7], off
.LBB11_2:
	s_or_b64 exec, exec, s[2:3]
	s_and_saveexec_b64 s[2:3], vcc
	s_cbranch_execz .LBB11_11
; %bb.3:
	s_load_dwordx2 s[2:3], s[0:1], 0x8
	s_load_dwordx4 s[4:7], s[0:1], 0x38
	s_waitcnt vmcnt(1)
	v_ashrrev_i32_e32 v3, 31, v2
	v_and_b32_e32 v0, 31, v0
	v_cmp_gt_u32_e32 vcc, 2, v0
	s_waitcnt lgkmcnt(0)
	v_lshl_add_u64 v[2:3], v[2:3], 2, s[2:3]
	global_load_dwordx2 v[2:3], v[2:3], off
                                        ; implicit-def: $vgpr1
	s_and_saveexec_b64 s[2:3], vcc
	s_cbranch_execz .LBB11_5
; %bb.4:
	s_load_dwordx2 s[8:9], s[0:1], 0x20
	v_add_u32_e32 v4, v4, v0
	v_ashrrev_i32_e32 v5, 31, v4
	s_waitcnt lgkmcnt(0)
	v_lshl_add_u64 v[4:5], v[4:5], 2, s[8:9]
	global_load_dword v1, v[4:5], off
.LBB11_5:
	s_or_b64 exec, exec, s[2:3]
	v_mbcnt_lo_u32_b32 v4, -1, 0
	v_mbcnt_hi_u32_b32 v4, -1, v4
	v_lshlrev_b32_e32 v4, 2, v4
	v_and_b32_e32 v5, 0x180, v4
	s_waitcnt vmcnt(0)
	ds_bpermute_b32 v4, v5, v1
	ds_bpermute_b32 v13, v5, v1 offset:4
	s_waitcnt lgkmcnt(1)
	v_add_u32_e32 v14, v4, v0
	s_waitcnt lgkmcnt(0)
	v_cmp_lt_i32_e32 vcc, v14, v13
	s_and_saveexec_b64 s[2:3], vcc
	s_cbranch_execz .LBB11_8
; %bb.6:
	s_load_dwordx4 s[8:11], s[0:1], 0x28
	v_ashrrev_i32_e32 v5, 31, v4
	v_mov_b32_e32 v1, 0
	v_lshl_add_u64 v[8:9], v[4:5], 0, v[0:1]
	v_add_u32_e32 v1, v2, v0
	s_waitcnt lgkmcnt(0)
	v_lshl_add_u64 v[6:7], v[8:9], 2, s[8:9]
	v_lshl_add_u64 v[8:9], v[8:9], 3, s[10:11]
	v_lshl_add_u32 v10, v1, 6, v12
	s_mov_b64 s[0:1], 0
	s_mov_b64 s[8:9], 0x80
	;; [unrolled: 1-line block ×3, first 2 shown]
.LBB11_7:                               ; =>This Inner Loop Header: Depth=1
	global_load_dword v1, v[6:7], off
	global_load_dwordx2 v[16:17], v[8:9], off
	v_add_u32_e32 v14, 32, v14
	v_ashrrev_i32_e32 v11, 31, v10
	v_cmp_ge_i32_e32 vcc, v14, v13
	v_lshl_add_u64 v[6:7], v[6:7], 0, s[8:9]
	v_lshl_add_u64 v[8:9], v[8:9], 0, s[10:11]
	;; [unrolled: 1-line block ×4, first 2 shown]
	v_add_u32_e32 v10, 0x800, v10
	s_or_b64 s[0:1], vcc, s[0:1]
	s_waitcnt vmcnt(1)
	global_store_dword v[18:19], v1, off
	s_waitcnt vmcnt(1)
	global_store_dwordx2 v[20:21], v[16:17], off
	s_andn2_b64 exec, exec, s[0:1]
	s_cbranch_execnz .LBB11_7
.LBB11_8:
	s_or_b64 exec, exec, s[2:3]
	v_sub_u32_e32 v1, v0, v4
	v_sub_u32_e32 v5, v3, v2
	v_add_u32_e32 v6, v1, v13
	v_cmp_lt_u32_e32 vcc, v6, v5
	s_and_b64 exec, exec, vcc
	s_cbranch_execz .LBB11_11
; %bb.9:
	v_add3_u32 v0, v13, v2, v0
	v_sub_u32_e32 v0, v0, v4
	v_mov_b32_e32 v2, 0
	v_lshl_add_u32 v0, v0, 6, v12
	s_mov_b64 s[0:1], 0
	v_mov_b32_e32 v3, v2
.LBB11_10:                              ; =>This Inner Loop Header: Depth=1
	v_ashrrev_i32_e32 v1, 31, v0
	v_add_u32_e32 v6, 32, v6
	v_lshl_add_u64 v[8:9], v[0:1], 2, s[4:5]
	v_cmp_ge_u32_e32 vcc, v6, v5
	global_store_dword v[8:9], v2, off
	v_lshl_add_u64 v[8:9], v[0:1], 3, s[6:7]
	s_or_b64 s[0:1], vcc, s[0:1]
	v_add_u32_e32 v0, 0x800, v0
	global_store_dwordx2 v[8:9], v[2:3], off
	s_andn2_b64 exec, exec, s[0:1]
	s_cbranch_execnz .LBB11_10
.LBB11_11:
	s_endpgm
	.section	.rodata,"a",@progbits
	.p2align	6, 0x0
	.amdhsa_kernel _Z15fillBlockColEllILi32EEviiPjPKiS2_S2_S2_PKdS0_Pd
		.amdhsa_group_segment_fixed_size 0
		.amdhsa_private_segment_fixed_size 0
		.amdhsa_kernarg_size 328
		.amdhsa_user_sgpr_count 2
		.amdhsa_user_sgpr_dispatch_ptr 0
		.amdhsa_user_sgpr_queue_ptr 0
		.amdhsa_user_sgpr_kernarg_segment_ptr 1
		.amdhsa_user_sgpr_dispatch_id 0
		.amdhsa_user_sgpr_kernarg_preload_length 0
		.amdhsa_user_sgpr_kernarg_preload_offset 0
		.amdhsa_user_sgpr_private_segment_size 0
		.amdhsa_uses_dynamic_stack 0
		.amdhsa_enable_private_segment 0
		.amdhsa_system_sgpr_workgroup_id_x 1
		.amdhsa_system_sgpr_workgroup_id_y 0
		.amdhsa_system_sgpr_workgroup_id_z 0
		.amdhsa_system_sgpr_workgroup_info 0
		.amdhsa_system_vgpr_workitem_id 0
		.amdhsa_next_free_vgpr 22
		.amdhsa_next_free_sgpr 12
		.amdhsa_accum_offset 24
		.amdhsa_reserve_vcc 1
		.amdhsa_float_round_mode_32 0
		.amdhsa_float_round_mode_16_64 0
		.amdhsa_float_denorm_mode_32 3
		.amdhsa_float_denorm_mode_16_64 3
		.amdhsa_dx10_clamp 1
		.amdhsa_ieee_mode 1
		.amdhsa_fp16_overflow 0
		.amdhsa_tg_split 0
		.amdhsa_exception_fp_ieee_invalid_op 0
		.amdhsa_exception_fp_denorm_src 0
		.amdhsa_exception_fp_ieee_div_zero 0
		.amdhsa_exception_fp_ieee_overflow 0
		.amdhsa_exception_fp_ieee_underflow 0
		.amdhsa_exception_fp_ieee_inexact 0
		.amdhsa_exception_int_div_zero 0
	.end_amdhsa_kernel
	.section	.text._Z15fillBlockColEllILi32EEviiPjPKiS2_S2_S2_PKdS0_Pd,"axG",@progbits,_Z15fillBlockColEllILi32EEviiPjPKiS2_S2_S2_PKdS0_Pd,comdat
.Lfunc_end11:
	.size	_Z15fillBlockColEllILi32EEviiPjPKiS2_S2_S2_PKdS0_Pd, .Lfunc_end11-_Z15fillBlockColEllILi32EEviiPjPKiS2_S2_S2_PKdS0_Pd
                                        ; -- End function
	.section	.AMDGPU.csdata,"",@progbits
; Kernel info:
; codeLenInByte = 612
; NumSgprs: 18
; NumVgprs: 22
; NumAgprs: 0
; TotalNumVgprs: 22
; ScratchSize: 0
; MemoryBound: 0
; FloatMode: 240
; IeeeMode: 1
; LDSByteSize: 0 bytes/workgroup (compile time only)
; SGPRBlocks: 2
; VGPRBlocks: 2
; NumSGPRsForWavesPerEU: 18
; NumVGPRsForWavesPerEU: 22
; AccumOffset: 24
; Occupancy: 8
; WaveLimiterHint : 0
; COMPUTE_PGM_RSRC2:SCRATCH_EN: 0
; COMPUTE_PGM_RSRC2:USER_SGPR: 2
; COMPUTE_PGM_RSRC2:TRAP_HANDLER: 0
; COMPUTE_PGM_RSRC2:TGID_X_EN: 1
; COMPUTE_PGM_RSRC2:TGID_Y_EN: 0
; COMPUTE_PGM_RSRC2:TGID_Z_EN: 0
; COMPUTE_PGM_RSRC2:TIDIG_COMP_CNT: 0
; COMPUTE_PGM_RSRC3_GFX90A:ACCUM_OFFSET: 5
; COMPUTE_PGM_RSRC3_GFX90A:TG_SPLIT: 0
	.section	.text._Z15fillBlockColEllILi64EEviiPjPKiS2_S2_S2_PKdS0_Pd,"axG",@progbits,_Z15fillBlockColEllILi64EEviiPjPKiS2_S2_S2_PKdS0_Pd,comdat
	.protected	_Z15fillBlockColEllILi64EEviiPjPKiS2_S2_S2_PKdS0_Pd ; -- Begin function _Z15fillBlockColEllILi64EEviiPjPKiS2_S2_S2_PKdS0_Pd
	.globl	_Z15fillBlockColEllILi64EEviiPjPKiS2_S2_S2_PKdS0_Pd
	.p2align	8
	.type	_Z15fillBlockColEllILi64EEviiPjPKiS2_S2_S2_PKdS0_Pd,@function
_Z15fillBlockColEllILi64EEviiPjPKiS2_S2_S2_PKdS0_Pd: ; @_Z15fillBlockColEllILi64EEviiPjPKiS2_S2_S2_PKdS0_Pd
; %bb.0:
	s_load_dword s3, s[0:1], 0x54
	s_load_dwordx2 s[4:5], s[0:1], 0x0
	v_lshrrev_b32_e32 v1, 6, v0
	v_mov_b32_e32 v12, 0
	s_waitcnt lgkmcnt(0)
	s_bfe_u32 s3, s3, 0xa0006
	s_mul_i32 s2, s2, s3
	v_add_u32_e32 v4, s2, v1
	s_add_i32 s2, s5, -1
	v_cmp_gt_i32_e32 vcc, s4, v4
	v_mov_b32_e32 v2, s2
	s_and_saveexec_b64 s[2:3], vcc
	s_cbranch_execz .LBB12_2
; %bb.1:
	s_load_dwordx4 s[4:7], s[0:1], 0x10
	v_ashrrev_i32_e32 v5, 31, v4
	v_lshlrev_b64 v[2:3], 2, v[4:5]
	s_waitcnt lgkmcnt(0)
	v_lshl_add_u64 v[8:9], s[4:5], 0, v[2:3]
	v_lshl_add_u64 v[6:7], s[6:7], 0, v[2:3]
	global_load_dword v2, v[8:9], off
	global_load_dword v12, v[6:7], off
.LBB12_2:
	s_or_b64 exec, exec, s[2:3]
	s_and_saveexec_b64 s[2:3], vcc
	s_cbranch_execz .LBB12_11
; %bb.3:
	s_load_dwordx2 s[2:3], s[0:1], 0x8
	s_load_dwordx4 s[4:7], s[0:1], 0x38
	s_waitcnt vmcnt(1)
	v_ashrrev_i32_e32 v3, 31, v2
	v_and_b32_e32 v0, 63, v0
	v_cmp_gt_u32_e32 vcc, 2, v0
	s_waitcnt lgkmcnt(0)
	v_lshl_add_u64 v[2:3], v[2:3], 2, s[2:3]
	global_load_dwordx2 v[2:3], v[2:3], off
                                        ; implicit-def: $vgpr1
	s_and_saveexec_b64 s[2:3], vcc
	s_cbranch_execz .LBB12_5
; %bb.4:
	s_load_dwordx2 s[8:9], s[0:1], 0x20
	v_add_u32_e32 v4, v4, v0
	v_ashrrev_i32_e32 v5, 31, v4
	s_waitcnt lgkmcnt(0)
	v_lshl_add_u64 v[4:5], v[4:5], 2, s[8:9]
	global_load_dword v1, v[4:5], off
.LBB12_5:
	s_or_b64 exec, exec, s[2:3]
	v_mbcnt_lo_u32_b32 v4, -1, 0
	v_mbcnt_hi_u32_b32 v4, -1, v4
	v_lshlrev_b32_e32 v4, 2, v4
	v_and_b32_e32 v5, 0x100, v4
	s_waitcnt vmcnt(0)
	ds_bpermute_b32 v4, v5, v1
	ds_bpermute_b32 v13, v5, v1 offset:4
	s_waitcnt lgkmcnt(1)
	v_add_u32_e32 v14, v4, v0
	s_waitcnt lgkmcnt(0)
	v_cmp_lt_i32_e32 vcc, v14, v13
	s_and_saveexec_b64 s[2:3], vcc
	s_cbranch_execz .LBB12_8
; %bb.6:
	s_load_dwordx4 s[8:11], s[0:1], 0x28
	v_ashrrev_i32_e32 v5, 31, v4
	v_mov_b32_e32 v1, 0
	v_lshl_add_u64 v[8:9], v[4:5], 0, v[0:1]
	v_add_u32_e32 v1, v2, v0
	s_waitcnt lgkmcnt(0)
	v_lshl_add_u64 v[6:7], v[8:9], 2, s[8:9]
	v_lshl_add_u64 v[8:9], v[8:9], 3, s[10:11]
	v_lshl_add_u32 v10, v1, 6, v12
	s_mov_b64 s[0:1], 0
	s_mov_b64 s[8:9], 0x100
	;; [unrolled: 1-line block ×3, first 2 shown]
.LBB12_7:                               ; =>This Inner Loop Header: Depth=1
	global_load_dword v1, v[6:7], off
	global_load_dwordx2 v[16:17], v[8:9], off
	v_add_u32_e32 v14, 64, v14
	v_ashrrev_i32_e32 v11, 31, v10
	v_cmp_ge_i32_e32 vcc, v14, v13
	v_lshl_add_u64 v[6:7], v[6:7], 0, s[8:9]
	v_lshl_add_u64 v[8:9], v[8:9], 0, s[10:11]
	;; [unrolled: 1-line block ×4, first 2 shown]
	v_add_u32_e32 v10, 0x1000, v10
	s_or_b64 s[0:1], vcc, s[0:1]
	s_waitcnt vmcnt(1)
	global_store_dword v[18:19], v1, off
	s_waitcnt vmcnt(1)
	global_store_dwordx2 v[20:21], v[16:17], off
	s_andn2_b64 exec, exec, s[0:1]
	s_cbranch_execnz .LBB12_7
.LBB12_8:
	s_or_b64 exec, exec, s[2:3]
	v_sub_u32_e32 v1, v0, v4
	v_sub_u32_e32 v5, v3, v2
	v_add_u32_e32 v6, v1, v13
	v_cmp_lt_u32_e32 vcc, v6, v5
	s_and_b64 exec, exec, vcc
	s_cbranch_execz .LBB12_11
; %bb.9:
	v_add3_u32 v0, v13, v2, v0
	v_sub_u32_e32 v0, v0, v4
	v_mov_b32_e32 v2, 0
	v_lshl_add_u32 v0, v0, 6, v12
	s_mov_b64 s[0:1], 0
	v_mov_b32_e32 v3, v2
.LBB12_10:                              ; =>This Inner Loop Header: Depth=1
	v_ashrrev_i32_e32 v1, 31, v0
	v_add_u32_e32 v6, 64, v6
	v_lshl_add_u64 v[8:9], v[0:1], 2, s[4:5]
	v_cmp_ge_u32_e32 vcc, v6, v5
	global_store_dword v[8:9], v2, off
	v_lshl_add_u64 v[8:9], v[0:1], 3, s[6:7]
	s_or_b64 s[0:1], vcc, s[0:1]
	v_add_u32_e32 v0, 0x1000, v0
	global_store_dwordx2 v[8:9], v[2:3], off
	s_andn2_b64 exec, exec, s[0:1]
	s_cbranch_execnz .LBB12_10
.LBB12_11:
	s_endpgm
	.section	.rodata,"a",@progbits
	.p2align	6, 0x0
	.amdhsa_kernel _Z15fillBlockColEllILi64EEviiPjPKiS2_S2_S2_PKdS0_Pd
		.amdhsa_group_segment_fixed_size 0
		.amdhsa_private_segment_fixed_size 0
		.amdhsa_kernarg_size 328
		.amdhsa_user_sgpr_count 2
		.amdhsa_user_sgpr_dispatch_ptr 0
		.amdhsa_user_sgpr_queue_ptr 0
		.amdhsa_user_sgpr_kernarg_segment_ptr 1
		.amdhsa_user_sgpr_dispatch_id 0
		.amdhsa_user_sgpr_kernarg_preload_length 0
		.amdhsa_user_sgpr_kernarg_preload_offset 0
		.amdhsa_user_sgpr_private_segment_size 0
		.amdhsa_uses_dynamic_stack 0
		.amdhsa_enable_private_segment 0
		.amdhsa_system_sgpr_workgroup_id_x 1
		.amdhsa_system_sgpr_workgroup_id_y 0
		.amdhsa_system_sgpr_workgroup_id_z 0
		.amdhsa_system_sgpr_workgroup_info 0
		.amdhsa_system_vgpr_workitem_id 0
		.amdhsa_next_free_vgpr 22
		.amdhsa_next_free_sgpr 12
		.amdhsa_accum_offset 24
		.amdhsa_reserve_vcc 1
		.amdhsa_float_round_mode_32 0
		.amdhsa_float_round_mode_16_64 0
		.amdhsa_float_denorm_mode_32 3
		.amdhsa_float_denorm_mode_16_64 3
		.amdhsa_dx10_clamp 1
		.amdhsa_ieee_mode 1
		.amdhsa_fp16_overflow 0
		.amdhsa_tg_split 0
		.amdhsa_exception_fp_ieee_invalid_op 0
		.amdhsa_exception_fp_denorm_src 0
		.amdhsa_exception_fp_ieee_div_zero 0
		.amdhsa_exception_fp_ieee_overflow 0
		.amdhsa_exception_fp_ieee_underflow 0
		.amdhsa_exception_fp_ieee_inexact 0
		.amdhsa_exception_int_div_zero 0
	.end_amdhsa_kernel
	.section	.text._Z15fillBlockColEllILi64EEviiPjPKiS2_S2_S2_PKdS0_Pd,"axG",@progbits,_Z15fillBlockColEllILi64EEviiPjPKiS2_S2_S2_PKdS0_Pd,comdat
.Lfunc_end12:
	.size	_Z15fillBlockColEllILi64EEviiPjPKiS2_S2_S2_PKdS0_Pd, .Lfunc_end12-_Z15fillBlockColEllILi64EEviiPjPKiS2_S2_S2_PKdS0_Pd
                                        ; -- End function
	.section	.AMDGPU.csdata,"",@progbits
; Kernel info:
; codeLenInByte = 612
; NumSgprs: 18
; NumVgprs: 22
; NumAgprs: 0
; TotalNumVgprs: 22
; ScratchSize: 0
; MemoryBound: 0
; FloatMode: 240
; IeeeMode: 1
; LDSByteSize: 0 bytes/workgroup (compile time only)
; SGPRBlocks: 2
; VGPRBlocks: 2
; NumSGPRsForWavesPerEU: 18
; NumVGPRsForWavesPerEU: 22
; AccumOffset: 24
; Occupancy: 8
; WaveLimiterHint : 0
; COMPUTE_PGM_RSRC2:SCRATCH_EN: 0
; COMPUTE_PGM_RSRC2:USER_SGPR: 2
; COMPUTE_PGM_RSRC2:TRAP_HANDLER: 0
; COMPUTE_PGM_RSRC2:TGID_X_EN: 1
; COMPUTE_PGM_RSRC2:TGID_Y_EN: 0
; COMPUTE_PGM_RSRC2:TGID_Z_EN: 0
; COMPUTE_PGM_RSRC2:TIDIG_COMP_CNT: 0
; COMPUTE_PGM_RSRC3_GFX90A:ACCUM_OFFSET: 5
; COMPUTE_PGM_RSRC3_GFX90A:TG_SPLIT: 0
	.section	.text._Z22blocked_ellpack_kernelILi5EEvjjPKjS1_PKdS3_Pddd,"axG",@progbits,_Z22blocked_ellpack_kernelILi5EEvjjPKjS1_PKdS3_Pddd,comdat
	.protected	_Z22blocked_ellpack_kernelILi5EEvjjPKjS1_PKdS3_Pddd ; -- Begin function _Z22blocked_ellpack_kernelILi5EEvjjPKjS1_PKdS3_Pddd
	.globl	_Z22blocked_ellpack_kernelILi5EEvjjPKjS1_PKdS3_Pddd
	.p2align	8
	.type	_Z22blocked_ellpack_kernelILi5EEvjjPKjS1_PKdS3_Pddd,@function
_Z22blocked_ellpack_kernelILi5EEvjjPKjS1_PKdS3_Pddd: ; @_Z22blocked_ellpack_kernelILi5EEvjjPKjS1_PKdS3_Pddd
; %bb.0:
	s_load_dword s3, s[0:1], 0x4c
	s_load_dwordx2 s[4:5], s[0:1], 0x0
	s_waitcnt lgkmcnt(0)
	s_and_b32 s3, s3, 0xffff
	s_mul_i32 s2, s2, s3
	v_add_u32_e32 v0, s2, v0
	v_lshrrev_b32_e32 v1, 5, v0
	v_cmp_gt_u32_e32 vcc, s5, v1
	s_and_saveexec_b64 s[2:3], vcc
	s_cbranch_execz .LBB13_9
; %bb.1:
	v_cmp_gt_u32_e32 vcc, s4, v0
	s_and_b64 exec, exec, vcc
	s_cbranch_execz .LBB13_9
; %bb.2:
	s_load_dwordx2 s[2:3], s[0:1], 0x8
	s_load_dwordx2 s[8:9], s[0:1], 0x28
	v_lshlrev_b32_e32 v1, 2, v1
	v_and_b32_e32 v4, 63, v0
	s_waitcnt lgkmcnt(0)
	global_load_dwordx2 v[2:3], v1, s[2:3]
	s_waitcnt vmcnt(0)
	v_lshlrev_b32_e32 v1, 5, v3
	v_lshl_add_u32 v4, v2, 5, v4
	v_cmp_lt_u32_e32 vcc, v4, v1
	v_mov_b64_e32 v[2:3], 0
	s_and_saveexec_b64 s[2:3], vcc
	s_cbranch_execz .LBB13_6
; %bb.3:
	s_load_dwordx4 s[4:7], s[0:1], 0x10
	s_load_dwordx2 s[12:13], s[0:1], 0x20
	s_mov_b64 s[10:11], 0
	v_mov_b64_e32 v[2:3], 0
	v_mov_b32_e32 v5, 0
.LBB13_4:                               ; =>This Inner Loop Header: Depth=1
	s_waitcnt lgkmcnt(0)
	v_lshl_add_u64 v[6:7], v[4:5], 2, s[4:5]
	global_load_dword v6, v[6:7], off
	v_mov_b32_e32 v7, v5
	v_lshl_add_u64 v[8:9], v[4:5], 3, s[6:7]
	global_load_dwordx2 v[8:9], v[8:9], off
	v_add_u32_e32 v4, 64, v4
	v_cmp_ge_u32_e32 vcc, v4, v1
	s_or_b64 s[10:11], vcc, s[10:11]
	s_waitcnt vmcnt(1)
	v_lshl_add_u64 v[6:7], v[6:7], 3, s[12:13]
	global_load_dwordx2 v[6:7], v[6:7], off
	s_waitcnt vmcnt(0)
	v_fmac_f64_e32 v[2:3], v[8:9], v[6:7]
	s_andn2_b64 exec, exec, s[10:11]
	s_cbranch_execnz .LBB13_4
; %bb.5:
	s_or_b64 exec, exec, s[10:11]
.LBB13_6:
	s_or_b64 exec, exec, s[2:3]
	s_load_dwordx4 s[0:3], s[0:1], 0x30
	v_mov_b32_e32 v1, 0
	v_lshl_add_u64 v[0:1], v[0:1], 3, s[8:9]
	s_waitcnt lgkmcnt(0)
	v_cmp_eq_f64_e64 s[4:5], s[2:3], 0
	v_mul_f64 v[2:3], v[2:3], s[0:1]
	s_and_b64 vcc, exec, s[4:5]
	s_cbranch_vccnz .LBB13_8
; %bb.7:
	global_load_dwordx2 v[4:5], v[0:1], off
	s_waitcnt vmcnt(0)
	v_fmac_f64_e32 v[2:3], s[2:3], v[4:5]
.LBB13_8:
	global_store_dwordx2 v[0:1], v[2:3], off
.LBB13_9:
	s_endpgm
	.section	.rodata,"a",@progbits
	.p2align	6, 0x0
	.amdhsa_kernel _Z22blocked_ellpack_kernelILi5EEvjjPKjS1_PKdS3_Pddd
		.amdhsa_group_segment_fixed_size 0
		.amdhsa_private_segment_fixed_size 0
		.amdhsa_kernarg_size 320
		.amdhsa_user_sgpr_count 2
		.amdhsa_user_sgpr_dispatch_ptr 0
		.amdhsa_user_sgpr_queue_ptr 0
		.amdhsa_user_sgpr_kernarg_segment_ptr 1
		.amdhsa_user_sgpr_dispatch_id 0
		.amdhsa_user_sgpr_kernarg_preload_length 0
		.amdhsa_user_sgpr_kernarg_preload_offset 0
		.amdhsa_user_sgpr_private_segment_size 0
		.amdhsa_uses_dynamic_stack 0
		.amdhsa_enable_private_segment 0
		.amdhsa_system_sgpr_workgroup_id_x 1
		.amdhsa_system_sgpr_workgroup_id_y 0
		.amdhsa_system_sgpr_workgroup_id_z 0
		.amdhsa_system_sgpr_workgroup_info 0
		.amdhsa_system_vgpr_workitem_id 0
		.amdhsa_next_free_vgpr 10
		.amdhsa_next_free_sgpr 14
		.amdhsa_accum_offset 12
		.amdhsa_reserve_vcc 1
		.amdhsa_float_round_mode_32 0
		.amdhsa_float_round_mode_16_64 0
		.amdhsa_float_denorm_mode_32 3
		.amdhsa_float_denorm_mode_16_64 3
		.amdhsa_dx10_clamp 1
		.amdhsa_ieee_mode 1
		.amdhsa_fp16_overflow 0
		.amdhsa_tg_split 0
		.amdhsa_exception_fp_ieee_invalid_op 0
		.amdhsa_exception_fp_denorm_src 0
		.amdhsa_exception_fp_ieee_div_zero 0
		.amdhsa_exception_fp_ieee_overflow 0
		.amdhsa_exception_fp_ieee_underflow 0
		.amdhsa_exception_fp_ieee_inexact 0
		.amdhsa_exception_int_div_zero 0
	.end_amdhsa_kernel
	.section	.text._Z22blocked_ellpack_kernelILi5EEvjjPKjS1_PKdS3_Pddd,"axG",@progbits,_Z22blocked_ellpack_kernelILi5EEvjjPKjS1_PKdS3_Pddd,comdat
.Lfunc_end13:
	.size	_Z22blocked_ellpack_kernelILi5EEvjjPKjS1_PKdS3_Pddd, .Lfunc_end13-_Z22blocked_ellpack_kernelILi5EEvjjPKjS1_PKdS3_Pddd
                                        ; -- End function
	.section	.AMDGPU.csdata,"",@progbits
; Kernel info:
; codeLenInByte = 332
; NumSgprs: 20
; NumVgprs: 10
; NumAgprs: 0
; TotalNumVgprs: 10
; ScratchSize: 0
; MemoryBound: 0
; FloatMode: 240
; IeeeMode: 1
; LDSByteSize: 0 bytes/workgroup (compile time only)
; SGPRBlocks: 2
; VGPRBlocks: 1
; NumSGPRsForWavesPerEU: 20
; NumVGPRsForWavesPerEU: 10
; AccumOffset: 12
; Occupancy: 8
; WaveLimiterHint : 1
; COMPUTE_PGM_RSRC2:SCRATCH_EN: 0
; COMPUTE_PGM_RSRC2:USER_SGPR: 2
; COMPUTE_PGM_RSRC2:TRAP_HANDLER: 0
; COMPUTE_PGM_RSRC2:TGID_X_EN: 1
; COMPUTE_PGM_RSRC2:TGID_Y_EN: 0
; COMPUTE_PGM_RSRC2:TGID_Z_EN: 0
; COMPUTE_PGM_RSRC2:TIDIG_COMP_CNT: 0
; COMPUTE_PGM_RSRC3_GFX90A:ACCUM_OFFSET: 2
; COMPUTE_PGM_RSRC3_GFX90A:TG_SPLIT: 0
	.section	.text._Z22blocked_ellpack_kernelILi6EEvjjPKjS1_PKdS3_Pddd,"axG",@progbits,_Z22blocked_ellpack_kernelILi6EEvjjPKjS1_PKdS3_Pddd,comdat
	.protected	_Z22blocked_ellpack_kernelILi6EEvjjPKjS1_PKdS3_Pddd ; -- Begin function _Z22blocked_ellpack_kernelILi6EEvjjPKjS1_PKdS3_Pddd
	.globl	_Z22blocked_ellpack_kernelILi6EEvjjPKjS1_PKdS3_Pddd
	.p2align	8
	.type	_Z22blocked_ellpack_kernelILi6EEvjjPKjS1_PKdS3_Pddd,@function
_Z22blocked_ellpack_kernelILi6EEvjjPKjS1_PKdS3_Pddd: ; @_Z22blocked_ellpack_kernelILi6EEvjjPKjS1_PKdS3_Pddd
; %bb.0:
	s_load_dword s3, s[0:1], 0x4c
	s_load_dwordx2 s[4:5], s[0:1], 0x0
	s_waitcnt lgkmcnt(0)
	s_and_b32 s3, s3, 0xffff
	s_mul_i32 s2, s2, s3
	v_add_u32_e32 v0, s2, v0
	v_lshrrev_b32_e32 v1, 6, v0
	v_cmp_gt_u32_e32 vcc, s5, v1
	s_and_saveexec_b64 s[2:3], vcc
	s_cbranch_execz .LBB14_9
; %bb.1:
	v_cmp_gt_u32_e32 vcc, s4, v0
	s_and_b64 exec, exec, vcc
	s_cbranch_execz .LBB14_9
; %bb.2:
	s_load_dwordx2 s[2:3], s[0:1], 0x8
	s_load_dwordx2 s[4:5], s[0:1], 0x28
	v_lshlrev_b32_e32 v1, 2, v1
	v_and_b32_e32 v4, 63, v0
	s_waitcnt lgkmcnt(0)
	global_load_dwordx2 v[2:3], v1, s[2:3]
	s_waitcnt vmcnt(0)
	v_lshlrev_b32_e32 v1, 6, v3
	v_lshl_or_b32 v4, v2, 6, v4
	v_cmp_lt_u32_e32 vcc, v4, v1
	v_mov_b64_e32 v[2:3], 0
	s_and_saveexec_b64 s[2:3], vcc
	s_cbranch_execz .LBB14_6
; %bb.3:
	s_load_dwordx4 s[8:11], s[0:1], 0x10
	s_load_dwordx2 s[6:7], s[0:1], 0x20
	v_mov_b32_e32 v7, 0
	v_mov_b32_e32 v5, v7
	v_mov_b64_e32 v[2:3], 0
	s_waitcnt lgkmcnt(0)
	v_lshl_add_u64 v[8:9], v[4:5], 3, s[10:11]
	v_lshl_add_u64 v[10:11], v[4:5], 2, s[8:9]
	s_mov_b64 s[8:9], 0
	s_mov_b64 s[10:11], 0x200
	;; [unrolled: 1-line block ×3, first 2 shown]
.LBB14_4:                               ; =>This Inner Loop Header: Depth=1
	global_load_dword v6, v[10:11], off
	global_load_dwordx2 v[12:13], v[8:9], off
	v_add_u32_e32 v4, 64, v4
	v_cmp_ge_u32_e32 vcc, v4, v1
	v_lshl_add_u64 v[8:9], v[8:9], 0, s[10:11]
	v_lshl_add_u64 v[10:11], v[10:11], 0, s[12:13]
	s_or_b64 s[8:9], vcc, s[8:9]
	s_waitcnt vmcnt(1)
	v_lshl_add_u64 v[14:15], v[6:7], 3, s[6:7]
	global_load_dwordx2 v[14:15], v[14:15], off
	s_waitcnt vmcnt(0)
	v_fmac_f64_e32 v[2:3], v[12:13], v[14:15]
	s_andn2_b64 exec, exec, s[8:9]
	s_cbranch_execnz .LBB14_4
; %bb.5:
	s_or_b64 exec, exec, s[8:9]
.LBB14_6:
	s_or_b64 exec, exec, s[2:3]
	s_load_dwordx4 s[0:3], s[0:1], 0x30
	v_mov_b32_e32 v1, 0
	v_lshl_add_u64 v[0:1], v[0:1], 3, s[4:5]
	s_waitcnt lgkmcnt(0)
	v_cmp_eq_f64_e64 s[6:7], s[2:3], 0
	v_mul_f64 v[2:3], v[2:3], s[0:1]
	s_and_b64 vcc, exec, s[6:7]
	s_cbranch_vccnz .LBB14_8
; %bb.7:
	global_load_dwordx2 v[4:5], v[0:1], off
	s_waitcnt vmcnt(0)
	v_fmac_f64_e32 v[2:3], s[2:3], v[4:5]
.LBB14_8:
	global_store_dwordx2 v[0:1], v[2:3], off
.LBB14_9:
	s_endpgm
	.section	.rodata,"a",@progbits
	.p2align	6, 0x0
	.amdhsa_kernel _Z22blocked_ellpack_kernelILi6EEvjjPKjS1_PKdS3_Pddd
		.amdhsa_group_segment_fixed_size 0
		.amdhsa_private_segment_fixed_size 0
		.amdhsa_kernarg_size 320
		.amdhsa_user_sgpr_count 2
		.amdhsa_user_sgpr_dispatch_ptr 0
		.amdhsa_user_sgpr_queue_ptr 0
		.amdhsa_user_sgpr_kernarg_segment_ptr 1
		.amdhsa_user_sgpr_dispatch_id 0
		.amdhsa_user_sgpr_kernarg_preload_length 0
		.amdhsa_user_sgpr_kernarg_preload_offset 0
		.amdhsa_user_sgpr_private_segment_size 0
		.amdhsa_uses_dynamic_stack 0
		.amdhsa_enable_private_segment 0
		.amdhsa_system_sgpr_workgroup_id_x 1
		.amdhsa_system_sgpr_workgroup_id_y 0
		.amdhsa_system_sgpr_workgroup_id_z 0
		.amdhsa_system_sgpr_workgroup_info 0
		.amdhsa_system_vgpr_workitem_id 0
		.amdhsa_next_free_vgpr 16
		.amdhsa_next_free_sgpr 14
		.amdhsa_accum_offset 16
		.amdhsa_reserve_vcc 1
		.amdhsa_float_round_mode_32 0
		.amdhsa_float_round_mode_16_64 0
		.amdhsa_float_denorm_mode_32 3
		.amdhsa_float_denorm_mode_16_64 3
		.amdhsa_dx10_clamp 1
		.amdhsa_ieee_mode 1
		.amdhsa_fp16_overflow 0
		.amdhsa_tg_split 0
		.amdhsa_exception_fp_ieee_invalid_op 0
		.amdhsa_exception_fp_denorm_src 0
		.amdhsa_exception_fp_ieee_div_zero 0
		.amdhsa_exception_fp_ieee_overflow 0
		.amdhsa_exception_fp_ieee_underflow 0
		.amdhsa_exception_fp_ieee_inexact 0
		.amdhsa_exception_int_div_zero 0
	.end_amdhsa_kernel
	.section	.text._Z22blocked_ellpack_kernelILi6EEvjjPKjS1_PKdS3_Pddd,"axG",@progbits,_Z22blocked_ellpack_kernelILi6EEvjjPKjS1_PKdS3_Pddd,comdat
.Lfunc_end14:
	.size	_Z22blocked_ellpack_kernelILi6EEvjjPKjS1_PKdS3_Pddd, .Lfunc_end14-_Z22blocked_ellpack_kernelILi6EEvjjPKjS1_PKdS3_Pddd
                                        ; -- End function
	.section	.AMDGPU.csdata,"",@progbits
; Kernel info:
; codeLenInByte = 364
; NumSgprs: 20
; NumVgprs: 16
; NumAgprs: 0
; TotalNumVgprs: 16
; ScratchSize: 0
; MemoryBound: 0
; FloatMode: 240
; IeeeMode: 1
; LDSByteSize: 0 bytes/workgroup (compile time only)
; SGPRBlocks: 2
; VGPRBlocks: 1
; NumSGPRsForWavesPerEU: 20
; NumVGPRsForWavesPerEU: 16
; AccumOffset: 16
; Occupancy: 8
; WaveLimiterHint : 1
; COMPUTE_PGM_RSRC2:SCRATCH_EN: 0
; COMPUTE_PGM_RSRC2:USER_SGPR: 2
; COMPUTE_PGM_RSRC2:TRAP_HANDLER: 0
; COMPUTE_PGM_RSRC2:TGID_X_EN: 1
; COMPUTE_PGM_RSRC2:TGID_Y_EN: 0
; COMPUTE_PGM_RSRC2:TGID_Z_EN: 0
; COMPUTE_PGM_RSRC2:TIDIG_COMP_CNT: 0
; COMPUTE_PGM_RSRC3_GFX90A:ACCUM_OFFSET: 3
; COMPUTE_PGM_RSRC3_GFX90A:TG_SPLIT: 0
	.text
	.p2alignl 6, 3212836864
	.fill 256, 4, 3212836864
	.type	__hip_cuid_71c14c2cfdbaa603,@object ; @__hip_cuid_71c14c2cfdbaa603
	.section	.bss,"aw",@nobits
	.globl	__hip_cuid_71c14c2cfdbaa603
__hip_cuid_71c14c2cfdbaa603:
	.byte	0                               ; 0x0
	.size	__hip_cuid_71c14c2cfdbaa603, 1

	.ident	"AMD clang version 19.0.0git (https://github.com/RadeonOpenCompute/llvm-project roc-6.4.0 25133 c7fe45cf4b819c5991fe208aaa96edf142730f1d)"
	.section	".note.GNU-stack","",@progbits
	.addrsig
	.addrsig_sym __hip_cuid_71c14c2cfdbaa603
	.amdgpu_metadata
---
amdhsa.kernels:
  - .agpr_count:     0
    .args:
      - .offset:         0
        .size:           4
        .value_kind:     by_value
      - .offset:         4
        .size:           4
        .value_kind:     by_value
      - .actual_access:  read_only
        .address_space:  global
        .offset:         8
        .size:           8
        .value_kind:     global_buffer
      - .actual_access:  write_only
        .address_space:  global
        .offset:         16
        .size:           8
        .value_kind:     global_buffer
      - .actual_access:  write_only
        .address_space:  global
        .offset:         24
        .size:           8
        .value_kind:     global_buffer
      - .actual_access:  write_only
        .address_space:  global
        .offset:         32
        .size:           8
        .value_kind:     global_buffer
      - .offset:         40
        .size:           4
        .value_kind:     hidden_block_count_x
      - .offset:         44
        .size:           4
        .value_kind:     hidden_block_count_y
      - .offset:         48
        .size:           4
        .value_kind:     hidden_block_count_z
      - .offset:         52
        .size:           2
        .value_kind:     hidden_group_size_x
      - .offset:         54
        .size:           2
        .value_kind:     hidden_group_size_y
      - .offset:         56
        .size:           2
        .value_kind:     hidden_group_size_z
      - .offset:         58
        .size:           2
        .value_kind:     hidden_remainder_x
      - .offset:         60
        .size:           2
        .value_kind:     hidden_remainder_y
      - .offset:         62
        .size:           2
        .value_kind:     hidden_remainder_z
      - .offset:         80
        .size:           8
        .value_kind:     hidden_global_offset_x
      - .offset:         88
        .size:           8
        .value_kind:     hidden_global_offset_y
      - .offset:         96
        .size:           8
        .value_kind:     hidden_global_offset_z
      - .offset:         104
        .size:           2
        .value_kind:     hidden_grid_dims
    .group_segment_fixed_size: 0
    .kernarg_segment_align: 8
    .kernarg_segment_size: 296
    .language:       OpenCL C
    .language_version:
      - 2
      - 0
    .max_flat_workgroup_size: 1024
    .name:           _Z27computeMaxNnzPerRowPerBlockiiPKiPjPiS2_
    .private_segment_fixed_size: 0
    .sgpr_count:     18
    .sgpr_spill_count: 0
    .symbol:         _Z27computeMaxNnzPerRowPerBlockiiPKiPjPiS2_.kd
    .uniform_work_group_size: 1
    .uses_dynamic_stack: false
    .vgpr_count:     10
    .vgpr_spill_count: 0
    .wavefront_size: 64
  - .agpr_count:     0
    .args:
      - .address_space:  global
        .offset:         0
        .size:           8
        .value_kind:     global_buffer
      - .offset:         8
        .size:           4
        .value_kind:     by_value
      - .offset:         12
        .size:           4
        .value_kind:     by_value
      - .address_space:  global
        .offset:         16
        .size:           8
        .value_kind:     global_buffer
      - .offset:         24
        .size:           4
        .value_kind:     hidden_block_count_x
      - .offset:         28
        .size:           4
        .value_kind:     hidden_block_count_y
      - .offset:         32
        .size:           4
        .value_kind:     hidden_block_count_z
      - .offset:         36
        .size:           2
        .value_kind:     hidden_group_size_x
      - .offset:         38
        .size:           2
        .value_kind:     hidden_group_size_y
      - .offset:         40
        .size:           2
        .value_kind:     hidden_group_size_z
      - .offset:         42
        .size:           2
        .value_kind:     hidden_remainder_x
      - .offset:         44
        .size:           2
        .value_kind:     hidden_remainder_y
      - .offset:         46
        .size:           2
        .value_kind:     hidden_remainder_z
      - .offset:         64
        .size:           8
        .value_kind:     hidden_global_offset_x
      - .offset:         72
        .size:           8
        .value_kind:     hidden_global_offset_y
      - .offset:         80
        .size:           8
        .value_kind:     hidden_global_offset_z
      - .offset:         88
        .size:           2
        .value_kind:     hidden_grid_dims
    .group_segment_fixed_size: 0
    .kernarg_segment_align: 8
    .kernarg_segment_size: 280
    .language:       OpenCL C
    .language_version:
      - 2
      - 0
    .max_flat_workgroup_size: 256
    .name:           _ZN7rocprim6detail31init_lookback_scan_state_kernelINS0_19lookback_scan_stateIjLb1ELb1EEEEEvT_jjPNS4_10value_typeE
    .private_segment_fixed_size: 0
    .sgpr_count:     18
    .sgpr_spill_count: 0
    .symbol:         _ZN7rocprim6detail31init_lookback_scan_state_kernelINS0_19lookback_scan_stateIjLb1ELb1EEEEEvT_jjPNS4_10value_typeE.kd
    .uniform_work_group_size: 1
    .uses_dynamic_stack: false
    .vgpr_count:     6
    .vgpr_spill_count: 0
    .wavefront_size: 64
  - .agpr_count:     0
    .args:
      - .address_space:  global
        .offset:         0
        .size:           8
        .value_kind:     global_buffer
      - .offset:         8
        .size:           4
        .value_kind:     by_value
      - .offset:         12
        .size:           4
        .value_kind:     by_value
      - .address_space:  global
        .offset:         16
        .size:           8
        .value_kind:     global_buffer
      - .offset:         24
        .size:           4
        .value_kind:     hidden_block_count_x
      - .offset:         28
        .size:           4
        .value_kind:     hidden_block_count_y
      - .offset:         32
        .size:           4
        .value_kind:     hidden_block_count_z
      - .offset:         36
        .size:           2
        .value_kind:     hidden_group_size_x
      - .offset:         38
        .size:           2
        .value_kind:     hidden_group_size_y
      - .offset:         40
        .size:           2
        .value_kind:     hidden_group_size_z
      - .offset:         42
        .size:           2
        .value_kind:     hidden_remainder_x
      - .offset:         44
        .size:           2
        .value_kind:     hidden_remainder_y
      - .offset:         46
        .size:           2
        .value_kind:     hidden_remainder_z
      - .offset:         64
        .size:           8
        .value_kind:     hidden_global_offset_x
      - .offset:         72
        .size:           8
        .value_kind:     hidden_global_offset_y
      - .offset:         80
        .size:           8
        .value_kind:     hidden_global_offset_z
      - .offset:         88
        .size:           2
        .value_kind:     hidden_grid_dims
    .group_segment_fixed_size: 0
    .kernarg_segment_align: 8
    .kernarg_segment_size: 280
    .language:       OpenCL C
    .language_version:
      - 2
      - 0
    .max_flat_workgroup_size: 256
    .name:           _ZN7rocprim6detail31init_lookback_scan_state_kernelINS0_19lookback_scan_stateIjLb0ELb1EEEEEvT_jjPNS4_10value_typeE
    .private_segment_fixed_size: 0
    .sgpr_count:     16
    .sgpr_spill_count: 0
    .symbol:         _ZN7rocprim6detail31init_lookback_scan_state_kernelINS0_19lookback_scan_stateIjLb0ELb1EEEEEvT_jjPNS4_10value_typeE.kd
    .uniform_work_group_size: 1
    .uses_dynamic_stack: false
    .vgpr_count:     6
    .vgpr_spill_count: 0
    .wavefront_size: 64
  - .agpr_count:     0
    .args:
      - .address_space:  global
        .offset:         0
        .size:           8
        .value_kind:     global_buffer
      - .address_space:  global
        .offset:         8
        .size:           8
        .value_kind:     global_buffer
      - .offset:         16
        .size:           8
        .value_kind:     by_value
      - .offset:         24
        .size:           4
        .value_kind:     by_value
      - .offset:         28
        .size:           1
        .value_kind:     by_value
      - .address_space:  global
        .offset:         32
        .size:           8
        .value_kind:     global_buffer
      - .offset:         40
        .size:           4
        .value_kind:     by_value
      - .address_space:  global
        .offset:         48
        .size:           8
        .value_kind:     global_buffer
      - .address_space:  global
        .offset:         56
        .size:           8
        .value_kind:     global_buffer
      - .offset:         64
        .size:           1
        .value_kind:     by_value
      - .offset:         65
        .size:           1
        .value_kind:     by_value
    .group_segment_fixed_size: 0
    .kernarg_segment_align: 8
    .kernarg_segment_size: 68
    .language:       OpenCL C
    .language_version:
      - 2
      - 0
    .max_flat_workgroup_size: 256
    .name:           _ZN7rocprim6detail20lookback_scan_kernelILNS0_25lookback_scan_determinismE0ELb1ENS0_19wrapped_scan_configINS_14default_configEjEEPjS6_N6thrust4plusIvEEjjNS0_19lookback_scan_stateIjLb1ELb1EEEEEvT2_T3_mT5_T4_T7_jPT6_SI_bb
    .private_segment_fixed_size: 0
    .sgpr_count:     6
    .sgpr_spill_count: 0
    .symbol:         _ZN7rocprim6detail20lookback_scan_kernelILNS0_25lookback_scan_determinismE0ELb1ENS0_19wrapped_scan_configINS_14default_configEjEEPjS6_N6thrust4plusIvEEjjNS0_19lookback_scan_stateIjLb1ELb1EEEEEvT2_T3_mT5_T4_T7_jPT6_SI_bb.kd
    .uniform_work_group_size: 1
    .uses_dynamic_stack: false
    .vgpr_count:     0
    .vgpr_spill_count: 0
    .wavefront_size: 64
  - .agpr_count:     0
    .args:
      - .address_space:  global
        .offset:         0
        .size:           8
        .value_kind:     global_buffer
      - .address_space:  global
        .offset:         8
        .size:           8
        .value_kind:     global_buffer
      - .offset:         16
        .size:           8
        .value_kind:     by_value
      - .offset:         24
        .size:           4
        .value_kind:     by_value
      - .offset:         28
        .size:           1
        .value_kind:     by_value
      - .address_space:  global
        .offset:         32
        .size:           8
        .value_kind:     global_buffer
      - .offset:         40
        .size:           4
        .value_kind:     by_value
      - .address_space:  global
        .offset:         48
        .size:           8
        .value_kind:     global_buffer
      - .address_space:  global
        .offset:         56
        .size:           8
        .value_kind:     global_buffer
      - .offset:         64
        .size:           1
        .value_kind:     by_value
      - .offset:         65
        .size:           1
        .value_kind:     by_value
    .group_segment_fixed_size: 21504
    .kernarg_segment_align: 8
    .kernarg_segment_size: 68
    .language:       OpenCL C
    .language_version:
      - 2
      - 0
    .max_flat_workgroup_size: 256
    .name:           _ZN7rocprim6detail20lookback_scan_kernelILNS0_25lookback_scan_determinismE0ELb1ENS0_19wrapped_scan_configINS_14default_configEjEEPjS6_N6thrust4plusIvEEjjNS0_19lookback_scan_stateIjLb0ELb1EEEEEvT2_T3_mT5_T4_T7_jPT6_SI_bb
    .private_segment_fixed_size: 0
    .sgpr_count:     32
    .sgpr_spill_count: 0
    .symbol:         _ZN7rocprim6detail20lookback_scan_kernelILNS0_25lookback_scan_determinismE0ELb1ENS0_19wrapped_scan_configINS_14default_configEjEEPjS6_N6thrust4plusIvEEjjNS0_19lookback_scan_stateIjLb0ELb1EEEEEvT2_T3_mT5_T4_T7_jPT6_SI_bb.kd
    .uniform_work_group_size: 1
    .uses_dynamic_stack: false
    .vgpr_count:     54
    .vgpr_spill_count: 0
    .wavefront_size: 64
  - .agpr_count:     0
    .args:
      - .address_space:  global
        .offset:         0
        .size:           8
        .value_kind:     global_buffer
      - .offset:         8
        .size:           8
        .value_kind:     by_value
      - .address_space:  global
        .offset:         16
        .size:           8
        .value_kind:     global_buffer
      - .offset:         24
        .size:           1
        .value_kind:     by_value
      - .offset:         32
        .size:           4
        .value_kind:     hidden_block_count_x
      - .offset:         36
        .size:           4
        .value_kind:     hidden_block_count_y
      - .offset:         40
        .size:           4
        .value_kind:     hidden_block_count_z
      - .offset:         44
        .size:           2
        .value_kind:     hidden_group_size_x
      - .offset:         46
        .size:           2
        .value_kind:     hidden_group_size_y
      - .offset:         48
        .size:           2
        .value_kind:     hidden_group_size_z
      - .offset:         50
        .size:           2
        .value_kind:     hidden_remainder_x
      - .offset:         52
        .size:           2
        .value_kind:     hidden_remainder_y
      - .offset:         54
        .size:           2
        .value_kind:     hidden_remainder_z
      - .offset:         72
        .size:           8
        .value_kind:     hidden_global_offset_x
      - .offset:         80
        .size:           8
        .value_kind:     hidden_global_offset_y
      - .offset:         88
        .size:           8
        .value_kind:     hidden_global_offset_z
      - .offset:         96
        .size:           2
        .value_kind:     hidden_grid_dims
    .group_segment_fixed_size: 0
    .kernarg_segment_align: 8
    .kernarg_segment_size: 288
    .language:       OpenCL C
    .language_version:
      - 2
      - 0
    .max_flat_workgroup_size: 256
    .name:           _ZN7rocprim6detail16transform_kernelINS0_24wrapped_transform_configINS_14default_configEjEEjPjS5_NS_8identityIjEEEEvT1_mT2_T3_
    .private_segment_fixed_size: 0
    .sgpr_count:     20
    .sgpr_spill_count: 0
    .symbol:         _ZN7rocprim6detail16transform_kernelINS0_24wrapped_transform_configINS_14default_configEjEEjPjS5_NS_8identityIjEEEEvT1_mT2_T3_.kd
    .uniform_work_group_size: 1
    .uses_dynamic_stack: false
    .vgpr_count:     10
    .vgpr_spill_count: 0
    .wavefront_size: 64
  - .agpr_count:     0
    .args:
      - .address_space:  global
        .offset:         0
        .size:           8
        .value_kind:     global_buffer
      - .offset:         8
        .size:           8
        .value_kind:     by_value
      - .offset:         16
        .size:           4
        .value_kind:     by_value
      - .address_space:  global
        .offset:         24
        .size:           8
        .value_kind:     global_buffer
      - .offset:         32
        .size:           1
        .value_kind:     by_value
    .group_segment_fixed_size: 21504
    .kernarg_segment_align: 8
    .kernarg_segment_size: 36
    .language:       OpenCL C
    .language_version:
      - 2
      - 0
    .max_flat_workgroup_size: 256
    .name:           _ZN7rocprim6detail18single_scan_kernelILb1ENS0_19wrapped_scan_configINS_14default_configEjEEPjS5_N6thrust4plusIvEEjjEEvT1_mT4_T2_T3_
    .private_segment_fixed_size: 0
    .sgpr_count:     54
    .sgpr_spill_count: 0
    .symbol:         _ZN7rocprim6detail18single_scan_kernelILb1ENS0_19wrapped_scan_configINS_14default_configEjEEPjS5_N6thrust4plusIvEEjjEEvT1_mT4_T2_T3_.kd
    .uniform_work_group_size: 1
    .uses_dynamic_stack: false
    .vgpr_count:     28
    .vgpr_spill_count: 0
    .wavefront_size: 64
  - .agpr_count:     0
    .args:
      - .offset:         0
        .size:           4
        .value_kind:     by_value
      - .offset:         4
        .size:           4
        .value_kind:     by_value
      - .actual_access:  read_only
        .address_space:  global
        .offset:         8
        .size:           8
        .value_kind:     global_buffer
      - .actual_access:  read_only
        .address_space:  global
        .offset:         16
        .size:           8
        .value_kind:     global_buffer
      - .actual_access:  read_only
        .address_space:  global
        .offset:         24
        .size:           8
        .value_kind:     global_buffer
      - .actual_access:  read_only
        .address_space:  global
        .offset:         32
        .size:           8
        .value_kind:     global_buffer
      - .actual_access:  read_only
        .address_space:  global
        .offset:         40
        .size:           8
        .value_kind:     global_buffer
      - .actual_access:  read_only
        .address_space:  global
        .offset:         48
        .size:           8
        .value_kind:     global_buffer
      - .actual_access:  write_only
        .address_space:  global
        .offset:         56
        .size:           8
        .value_kind:     global_buffer
      - .actual_access:  write_only
        .address_space:  global
        .offset:         64
        .size:           8
        .value_kind:     global_buffer
      - .offset:         72
        .size:           4
        .value_kind:     hidden_block_count_x
      - .offset:         76
        .size:           4
        .value_kind:     hidden_block_count_y
      - .offset:         80
        .size:           4
        .value_kind:     hidden_block_count_z
      - .offset:         84
        .size:           2
        .value_kind:     hidden_group_size_x
      - .offset:         86
        .size:           2
        .value_kind:     hidden_group_size_y
      - .offset:         88
        .size:           2
        .value_kind:     hidden_group_size_z
      - .offset:         90
        .size:           2
        .value_kind:     hidden_remainder_x
      - .offset:         92
        .size:           2
        .value_kind:     hidden_remainder_y
      - .offset:         94
        .size:           2
        .value_kind:     hidden_remainder_z
      - .offset:         112
        .size:           8
        .value_kind:     hidden_global_offset_x
      - .offset:         120
        .size:           8
        .value_kind:     hidden_global_offset_y
      - .offset:         128
        .size:           8
        .value_kind:     hidden_global_offset_z
      - .offset:         136
        .size:           2
        .value_kind:     hidden_grid_dims
    .group_segment_fixed_size: 0
    .kernarg_segment_align: 8
    .kernarg_segment_size: 328
    .language:       OpenCL C
    .language_version:
      - 2
      - 0
    .max_flat_workgroup_size: 1024
    .name:           _Z15fillBlockColEllILi2EEviiPjPKiS2_S2_S2_PKdS0_Pd
    .private_segment_fixed_size: 0
    .sgpr_count:     18
    .sgpr_spill_count: 0
    .symbol:         _Z15fillBlockColEllILi2EEviiPjPKiS2_S2_S2_PKdS0_Pd.kd
    .uniform_work_group_size: 1
    .uses_dynamic_stack: false
    .vgpr_count:     22
    .vgpr_spill_count: 0
    .wavefront_size: 64
  - .agpr_count:     0
    .args:
      - .offset:         0
        .size:           4
        .value_kind:     by_value
      - .offset:         4
        .size:           4
        .value_kind:     by_value
      - .actual_access:  read_only
        .address_space:  global
        .offset:         8
        .size:           8
        .value_kind:     global_buffer
      - .actual_access:  read_only
        .address_space:  global
        .offset:         16
        .size:           8
        .value_kind:     global_buffer
      - .actual_access:  read_only
        .address_space:  global
        .offset:         24
        .size:           8
        .value_kind:     global_buffer
      - .actual_access:  read_only
        .address_space:  global
        .offset:         32
        .size:           8
        .value_kind:     global_buffer
      - .actual_access:  read_only
        .address_space:  global
        .offset:         40
        .size:           8
        .value_kind:     global_buffer
      - .actual_access:  read_only
        .address_space:  global
        .offset:         48
        .size:           8
        .value_kind:     global_buffer
      - .actual_access:  write_only
        .address_space:  global
        .offset:         56
        .size:           8
        .value_kind:     global_buffer
      - .actual_access:  write_only
        .address_space:  global
        .offset:         64
        .size:           8
        .value_kind:     global_buffer
      - .offset:         72
        .size:           4
        .value_kind:     hidden_block_count_x
      - .offset:         76
        .size:           4
        .value_kind:     hidden_block_count_y
      - .offset:         80
        .size:           4
        .value_kind:     hidden_block_count_z
      - .offset:         84
        .size:           2
        .value_kind:     hidden_group_size_x
      - .offset:         86
        .size:           2
        .value_kind:     hidden_group_size_y
      - .offset:         88
        .size:           2
        .value_kind:     hidden_group_size_z
      - .offset:         90
        .size:           2
        .value_kind:     hidden_remainder_x
      - .offset:         92
        .size:           2
        .value_kind:     hidden_remainder_y
      - .offset:         94
        .size:           2
        .value_kind:     hidden_remainder_z
      - .offset:         112
        .size:           8
        .value_kind:     hidden_global_offset_x
      - .offset:         120
        .size:           8
        .value_kind:     hidden_global_offset_y
      - .offset:         128
        .size:           8
        .value_kind:     hidden_global_offset_z
      - .offset:         136
        .size:           2
        .value_kind:     hidden_grid_dims
    .group_segment_fixed_size: 0
    .kernarg_segment_align: 8
    .kernarg_segment_size: 328
    .language:       OpenCL C
    .language_version:
      - 2
      - 0
    .max_flat_workgroup_size: 1024
    .name:           _Z15fillBlockColEllILi4EEviiPjPKiS2_S2_S2_PKdS0_Pd
    .private_segment_fixed_size: 0
    .sgpr_count:     18
    .sgpr_spill_count: 0
    .symbol:         _Z15fillBlockColEllILi4EEviiPjPKiS2_S2_S2_PKdS0_Pd.kd
    .uniform_work_group_size: 1
    .uses_dynamic_stack: false
    .vgpr_count:     22
    .vgpr_spill_count: 0
    .wavefront_size: 64
  - .agpr_count:     0
    .args:
      - .offset:         0
        .size:           4
        .value_kind:     by_value
      - .offset:         4
        .size:           4
        .value_kind:     by_value
      - .actual_access:  read_only
        .address_space:  global
        .offset:         8
        .size:           8
        .value_kind:     global_buffer
      - .actual_access:  read_only
        .address_space:  global
        .offset:         16
        .size:           8
        .value_kind:     global_buffer
      - .actual_access:  read_only
        .address_space:  global
        .offset:         24
        .size:           8
        .value_kind:     global_buffer
      - .actual_access:  read_only
        .address_space:  global
        .offset:         32
        .size:           8
        .value_kind:     global_buffer
      - .actual_access:  read_only
        .address_space:  global
        .offset:         40
        .size:           8
        .value_kind:     global_buffer
      - .actual_access:  read_only
        .address_space:  global
        .offset:         48
        .size:           8
        .value_kind:     global_buffer
      - .actual_access:  write_only
        .address_space:  global
        .offset:         56
        .size:           8
        .value_kind:     global_buffer
      - .actual_access:  write_only
        .address_space:  global
        .offset:         64
        .size:           8
        .value_kind:     global_buffer
      - .offset:         72
        .size:           4
        .value_kind:     hidden_block_count_x
      - .offset:         76
        .size:           4
        .value_kind:     hidden_block_count_y
      - .offset:         80
        .size:           4
        .value_kind:     hidden_block_count_z
      - .offset:         84
        .size:           2
        .value_kind:     hidden_group_size_x
      - .offset:         86
        .size:           2
        .value_kind:     hidden_group_size_y
      - .offset:         88
        .size:           2
        .value_kind:     hidden_group_size_z
      - .offset:         90
        .size:           2
        .value_kind:     hidden_remainder_x
      - .offset:         92
        .size:           2
        .value_kind:     hidden_remainder_y
      - .offset:         94
        .size:           2
        .value_kind:     hidden_remainder_z
      - .offset:         112
        .size:           8
        .value_kind:     hidden_global_offset_x
      - .offset:         120
        .size:           8
        .value_kind:     hidden_global_offset_y
      - .offset:         128
        .size:           8
        .value_kind:     hidden_global_offset_z
      - .offset:         136
        .size:           2
        .value_kind:     hidden_grid_dims
    .group_segment_fixed_size: 0
    .kernarg_segment_align: 8
    .kernarg_segment_size: 328
    .language:       OpenCL C
    .language_version:
      - 2
      - 0
    .max_flat_workgroup_size: 1024
    .name:           _Z15fillBlockColEllILi8EEviiPjPKiS2_S2_S2_PKdS0_Pd
    .private_segment_fixed_size: 0
    .sgpr_count:     18
    .sgpr_spill_count: 0
    .symbol:         _Z15fillBlockColEllILi8EEviiPjPKiS2_S2_S2_PKdS0_Pd.kd
    .uniform_work_group_size: 1
    .uses_dynamic_stack: false
    .vgpr_count:     22
    .vgpr_spill_count: 0
    .wavefront_size: 64
  - .agpr_count:     0
    .args:
      - .offset:         0
        .size:           4
        .value_kind:     by_value
      - .offset:         4
        .size:           4
        .value_kind:     by_value
      - .actual_access:  read_only
        .address_space:  global
        .offset:         8
        .size:           8
        .value_kind:     global_buffer
      - .actual_access:  read_only
        .address_space:  global
        .offset:         16
        .size:           8
        .value_kind:     global_buffer
      - .actual_access:  read_only
        .address_space:  global
        .offset:         24
        .size:           8
        .value_kind:     global_buffer
      - .actual_access:  read_only
        .address_space:  global
        .offset:         32
        .size:           8
        .value_kind:     global_buffer
      - .actual_access:  read_only
        .address_space:  global
        .offset:         40
        .size:           8
        .value_kind:     global_buffer
      - .actual_access:  read_only
        .address_space:  global
        .offset:         48
        .size:           8
        .value_kind:     global_buffer
      - .actual_access:  write_only
        .address_space:  global
        .offset:         56
        .size:           8
        .value_kind:     global_buffer
      - .actual_access:  write_only
        .address_space:  global
        .offset:         64
        .size:           8
        .value_kind:     global_buffer
      - .offset:         72
        .size:           4
        .value_kind:     hidden_block_count_x
      - .offset:         76
        .size:           4
        .value_kind:     hidden_block_count_y
      - .offset:         80
        .size:           4
        .value_kind:     hidden_block_count_z
      - .offset:         84
        .size:           2
        .value_kind:     hidden_group_size_x
      - .offset:         86
        .size:           2
        .value_kind:     hidden_group_size_y
      - .offset:         88
        .size:           2
        .value_kind:     hidden_group_size_z
      - .offset:         90
        .size:           2
        .value_kind:     hidden_remainder_x
      - .offset:         92
        .size:           2
        .value_kind:     hidden_remainder_y
      - .offset:         94
        .size:           2
        .value_kind:     hidden_remainder_z
      - .offset:         112
        .size:           8
        .value_kind:     hidden_global_offset_x
      - .offset:         120
        .size:           8
        .value_kind:     hidden_global_offset_y
      - .offset:         128
        .size:           8
        .value_kind:     hidden_global_offset_z
      - .offset:         136
        .size:           2
        .value_kind:     hidden_grid_dims
    .group_segment_fixed_size: 0
    .kernarg_segment_align: 8
    .kernarg_segment_size: 328
    .language:       OpenCL C
    .language_version:
      - 2
      - 0
    .max_flat_workgroup_size: 1024
    .name:           _Z15fillBlockColEllILi16EEviiPjPKiS2_S2_S2_PKdS0_Pd
    .private_segment_fixed_size: 0
    .sgpr_count:     18
    .sgpr_spill_count: 0
    .symbol:         _Z15fillBlockColEllILi16EEviiPjPKiS2_S2_S2_PKdS0_Pd.kd
    .uniform_work_group_size: 1
    .uses_dynamic_stack: false
    .vgpr_count:     22
    .vgpr_spill_count: 0
    .wavefront_size: 64
  - .agpr_count:     0
    .args:
      - .offset:         0
        .size:           4
        .value_kind:     by_value
      - .offset:         4
        .size:           4
        .value_kind:     by_value
      - .actual_access:  read_only
        .address_space:  global
        .offset:         8
        .size:           8
        .value_kind:     global_buffer
      - .actual_access:  read_only
        .address_space:  global
        .offset:         16
        .size:           8
        .value_kind:     global_buffer
      - .actual_access:  read_only
        .address_space:  global
        .offset:         24
        .size:           8
        .value_kind:     global_buffer
      - .actual_access:  read_only
        .address_space:  global
        .offset:         32
        .size:           8
        .value_kind:     global_buffer
      - .actual_access:  read_only
        .address_space:  global
        .offset:         40
        .size:           8
        .value_kind:     global_buffer
      - .actual_access:  read_only
        .address_space:  global
        .offset:         48
        .size:           8
        .value_kind:     global_buffer
      - .actual_access:  write_only
        .address_space:  global
        .offset:         56
        .size:           8
        .value_kind:     global_buffer
      - .actual_access:  write_only
        .address_space:  global
        .offset:         64
        .size:           8
        .value_kind:     global_buffer
      - .offset:         72
        .size:           4
        .value_kind:     hidden_block_count_x
      - .offset:         76
        .size:           4
        .value_kind:     hidden_block_count_y
      - .offset:         80
        .size:           4
        .value_kind:     hidden_block_count_z
      - .offset:         84
        .size:           2
        .value_kind:     hidden_group_size_x
      - .offset:         86
        .size:           2
        .value_kind:     hidden_group_size_y
      - .offset:         88
        .size:           2
        .value_kind:     hidden_group_size_z
      - .offset:         90
        .size:           2
        .value_kind:     hidden_remainder_x
      - .offset:         92
        .size:           2
        .value_kind:     hidden_remainder_y
      - .offset:         94
        .size:           2
        .value_kind:     hidden_remainder_z
      - .offset:         112
        .size:           8
        .value_kind:     hidden_global_offset_x
      - .offset:         120
        .size:           8
        .value_kind:     hidden_global_offset_y
      - .offset:         128
        .size:           8
        .value_kind:     hidden_global_offset_z
      - .offset:         136
        .size:           2
        .value_kind:     hidden_grid_dims
    .group_segment_fixed_size: 0
    .kernarg_segment_align: 8
    .kernarg_segment_size: 328
    .language:       OpenCL C
    .language_version:
      - 2
      - 0
    .max_flat_workgroup_size: 1024
    .name:           _Z15fillBlockColEllILi32EEviiPjPKiS2_S2_S2_PKdS0_Pd
    .private_segment_fixed_size: 0
    .sgpr_count:     18
    .sgpr_spill_count: 0
    .symbol:         _Z15fillBlockColEllILi32EEviiPjPKiS2_S2_S2_PKdS0_Pd.kd
    .uniform_work_group_size: 1
    .uses_dynamic_stack: false
    .vgpr_count:     22
    .vgpr_spill_count: 0
    .wavefront_size: 64
  - .agpr_count:     0
    .args:
      - .offset:         0
        .size:           4
        .value_kind:     by_value
      - .offset:         4
        .size:           4
        .value_kind:     by_value
      - .actual_access:  read_only
        .address_space:  global
        .offset:         8
        .size:           8
        .value_kind:     global_buffer
      - .actual_access:  read_only
        .address_space:  global
        .offset:         16
        .size:           8
        .value_kind:     global_buffer
      - .actual_access:  read_only
        .address_space:  global
        .offset:         24
        .size:           8
        .value_kind:     global_buffer
      - .actual_access:  read_only
        .address_space:  global
        .offset:         32
        .size:           8
        .value_kind:     global_buffer
      - .actual_access:  read_only
        .address_space:  global
        .offset:         40
        .size:           8
        .value_kind:     global_buffer
      - .actual_access:  read_only
        .address_space:  global
        .offset:         48
        .size:           8
        .value_kind:     global_buffer
      - .actual_access:  write_only
        .address_space:  global
        .offset:         56
        .size:           8
        .value_kind:     global_buffer
      - .actual_access:  write_only
        .address_space:  global
        .offset:         64
        .size:           8
        .value_kind:     global_buffer
      - .offset:         72
        .size:           4
        .value_kind:     hidden_block_count_x
      - .offset:         76
        .size:           4
        .value_kind:     hidden_block_count_y
      - .offset:         80
        .size:           4
        .value_kind:     hidden_block_count_z
      - .offset:         84
        .size:           2
        .value_kind:     hidden_group_size_x
      - .offset:         86
        .size:           2
        .value_kind:     hidden_group_size_y
      - .offset:         88
        .size:           2
        .value_kind:     hidden_group_size_z
      - .offset:         90
        .size:           2
        .value_kind:     hidden_remainder_x
      - .offset:         92
        .size:           2
        .value_kind:     hidden_remainder_y
      - .offset:         94
        .size:           2
        .value_kind:     hidden_remainder_z
      - .offset:         112
        .size:           8
        .value_kind:     hidden_global_offset_x
      - .offset:         120
        .size:           8
        .value_kind:     hidden_global_offset_y
      - .offset:         128
        .size:           8
        .value_kind:     hidden_global_offset_z
      - .offset:         136
        .size:           2
        .value_kind:     hidden_grid_dims
    .group_segment_fixed_size: 0
    .kernarg_segment_align: 8
    .kernarg_segment_size: 328
    .language:       OpenCL C
    .language_version:
      - 2
      - 0
    .max_flat_workgroup_size: 1024
    .name:           _Z15fillBlockColEllILi64EEviiPjPKiS2_S2_S2_PKdS0_Pd
    .private_segment_fixed_size: 0
    .sgpr_count:     18
    .sgpr_spill_count: 0
    .symbol:         _Z15fillBlockColEllILi64EEviiPjPKiS2_S2_S2_PKdS0_Pd.kd
    .uniform_work_group_size: 1
    .uses_dynamic_stack: false
    .vgpr_count:     22
    .vgpr_spill_count: 0
    .wavefront_size: 64
  - .agpr_count:     0
    .args:
      - .offset:         0
        .size:           4
        .value_kind:     by_value
      - .offset:         4
        .size:           4
        .value_kind:     by_value
      - .actual_access:  read_only
        .address_space:  global
        .offset:         8
        .size:           8
        .value_kind:     global_buffer
      - .actual_access:  read_only
        .address_space:  global
        .offset:         16
        .size:           8
        .value_kind:     global_buffer
      - .actual_access:  read_only
        .address_space:  global
        .offset:         24
        .size:           8
        .value_kind:     global_buffer
      - .actual_access:  read_only
        .address_space:  global
        .offset:         32
        .size:           8
        .value_kind:     global_buffer
      - .address_space:  global
        .offset:         40
        .size:           8
        .value_kind:     global_buffer
      - .offset:         48
        .size:           8
        .value_kind:     by_value
      - .offset:         56
        .size:           8
        .value_kind:     by_value
      - .offset:         64
        .size:           4
        .value_kind:     hidden_block_count_x
      - .offset:         68
        .size:           4
        .value_kind:     hidden_block_count_y
      - .offset:         72
        .size:           4
        .value_kind:     hidden_block_count_z
      - .offset:         76
        .size:           2
        .value_kind:     hidden_group_size_x
      - .offset:         78
        .size:           2
        .value_kind:     hidden_group_size_y
      - .offset:         80
        .size:           2
        .value_kind:     hidden_group_size_z
      - .offset:         82
        .size:           2
        .value_kind:     hidden_remainder_x
      - .offset:         84
        .size:           2
        .value_kind:     hidden_remainder_y
      - .offset:         86
        .size:           2
        .value_kind:     hidden_remainder_z
      - .offset:         104
        .size:           8
        .value_kind:     hidden_global_offset_x
      - .offset:         112
        .size:           8
        .value_kind:     hidden_global_offset_y
      - .offset:         120
        .size:           8
        .value_kind:     hidden_global_offset_z
      - .offset:         128
        .size:           2
        .value_kind:     hidden_grid_dims
    .group_segment_fixed_size: 0
    .kernarg_segment_align: 8
    .kernarg_segment_size: 320
    .language:       OpenCL C
    .language_version:
      - 2
      - 0
    .max_flat_workgroup_size: 1024
    .name:           _Z22blocked_ellpack_kernelILi5EEvjjPKjS1_PKdS3_Pddd
    .private_segment_fixed_size: 0
    .sgpr_count:     20
    .sgpr_spill_count: 0
    .symbol:         _Z22blocked_ellpack_kernelILi5EEvjjPKjS1_PKdS3_Pddd.kd
    .uniform_work_group_size: 1
    .uses_dynamic_stack: false
    .vgpr_count:     10
    .vgpr_spill_count: 0
    .wavefront_size: 64
  - .agpr_count:     0
    .args:
      - .offset:         0
        .size:           4
        .value_kind:     by_value
      - .offset:         4
        .size:           4
        .value_kind:     by_value
      - .actual_access:  read_only
        .address_space:  global
        .offset:         8
        .size:           8
        .value_kind:     global_buffer
      - .actual_access:  read_only
        .address_space:  global
        .offset:         16
        .size:           8
        .value_kind:     global_buffer
      - .actual_access:  read_only
        .address_space:  global
        .offset:         24
        .size:           8
        .value_kind:     global_buffer
      - .actual_access:  read_only
        .address_space:  global
        .offset:         32
        .size:           8
        .value_kind:     global_buffer
      - .address_space:  global
        .offset:         40
        .size:           8
        .value_kind:     global_buffer
      - .offset:         48
        .size:           8
        .value_kind:     by_value
      - .offset:         56
        .size:           8
        .value_kind:     by_value
      - .offset:         64
        .size:           4
        .value_kind:     hidden_block_count_x
      - .offset:         68
        .size:           4
        .value_kind:     hidden_block_count_y
      - .offset:         72
        .size:           4
        .value_kind:     hidden_block_count_z
      - .offset:         76
        .size:           2
        .value_kind:     hidden_group_size_x
      - .offset:         78
        .size:           2
        .value_kind:     hidden_group_size_y
      - .offset:         80
        .size:           2
        .value_kind:     hidden_group_size_z
      - .offset:         82
        .size:           2
        .value_kind:     hidden_remainder_x
      - .offset:         84
        .size:           2
        .value_kind:     hidden_remainder_y
      - .offset:         86
        .size:           2
        .value_kind:     hidden_remainder_z
      - .offset:         104
        .size:           8
        .value_kind:     hidden_global_offset_x
      - .offset:         112
        .size:           8
        .value_kind:     hidden_global_offset_y
      - .offset:         120
        .size:           8
        .value_kind:     hidden_global_offset_z
      - .offset:         128
        .size:           2
        .value_kind:     hidden_grid_dims
    .group_segment_fixed_size: 0
    .kernarg_segment_align: 8
    .kernarg_segment_size: 320
    .language:       OpenCL C
    .language_version:
      - 2
      - 0
    .max_flat_workgroup_size: 1024
    .name:           _Z22blocked_ellpack_kernelILi6EEvjjPKjS1_PKdS3_Pddd
    .private_segment_fixed_size: 0
    .sgpr_count:     20
    .sgpr_spill_count: 0
    .symbol:         _Z22blocked_ellpack_kernelILi6EEvjjPKjS1_PKdS3_Pddd.kd
    .uniform_work_group_size: 1
    .uses_dynamic_stack: false
    .vgpr_count:     16
    .vgpr_spill_count: 0
    .wavefront_size: 64
amdhsa.target:   amdgcn-amd-amdhsa--gfx942
amdhsa.version:
  - 1
  - 2
...

	.end_amdgpu_metadata
